;; amdgpu-corpus repo=ggml-org/llama.cpp kind=compiled arch=gfx90a opt=O3
	.text
	.amdgcn_target "amdgcn-amd-amdhsa--gfx90a"
	.amdhsa_code_object_version 6
	.section	.text._ZL18get_batch_pointersPKfPfPS0_PS1_llmmmm,"axG",@progbits,_ZL18get_batch_pointersPKfPfPS0_PS1_llmmmm,comdat
	.globl	_ZL18get_batch_pointersPKfPfPS0_PS1_llmmmm ; -- Begin function _ZL18get_batch_pointersPKfPfPS0_PS1_llmmmm
	.p2align	8
	.type	_ZL18get_batch_pointersPKfPfPS0_PS1_llmmmm,@function
_ZL18get_batch_pointersPKfPfPS0_PS1_llmmmm: ; @_ZL18get_batch_pointersPKfPfPS0_PS1_llmmmm
; %bb.0:
	s_load_dword s0, s[4:5], 0x5c
	s_load_dwordx16 s[8:23], s[4:5], 0x0
	s_waitcnt lgkmcnt(0)
	s_and_b32 s0, s0, 0xffff
	s_mul_i32 s6, s6, s0
	v_add_u32_e32 v0, s6, v0
	v_ashrrev_i32_e32 v1, 31, v0
	v_cmp_gt_i64_e32 vcc, s[18:19], v[0:1]
	s_and_saveexec_b64 s[0:1], vcc
	s_cbranch_execz .LBB0_6
; %bb.1:
	v_or_b32_e32 v3, s17, v1
	v_mov_b32_e32 v2, 0
	v_cmp_ne_u64_e32 vcc, 0, v[2:3]
                                        ; implicit-def: $vgpr2_vgpr3
	s_and_saveexec_b64 s[0:1], vcc
	s_xor_b64 s[2:3], exec, s[0:1]
	s_cbranch_execz .LBB0_3
; %bb.2:
	s_ashr_i32 s6, s17, 31
	s_add_u32 s0, s16, s6
	s_mov_b32 s7, s6
	s_addc_u32 s1, s17, s6
	s_xor_b64 s[18:19], s[0:1], s[6:7]
	v_cvt_f32_u32_e32 v2, s18
	v_cvt_f32_u32_e32 v3, s19
	s_sub_u32 s0, 0, s18
	s_subb_u32 s1, 0, s19
	v_madmk_f32 v2, v3, 0x4f800000, v2
	v_rcp_f32_e32 v2, v2
	v_mul_f32_e32 v2, 0x5f7ffffc, v2
	v_mul_f32_e32 v3, 0x2f800000, v2
	v_trunc_f32_e32 v3, v3
	v_madmk_f32 v2, v3, 0xcf800000, v2
	v_cvt_u32_f32_e32 v3, v3
	v_cvt_u32_f32_e32 v2, v2
	v_mul_lo_u32 v4, s0, v3
	v_mul_hi_u32 v6, s0, v2
	v_mul_lo_u32 v5, s1, v2
	v_add_u32_e32 v4, v6, v4
	v_mul_lo_u32 v7, s0, v2
	v_add_u32_e32 v4, v4, v5
	v_mul_lo_u32 v6, v2, v4
	v_mul_hi_u32 v8, v2, v7
	v_mul_hi_u32 v5, v2, v4
	v_add_co_u32_e32 v6, vcc, v8, v6
	v_addc_co_u32_e32 v5, vcc, 0, v5, vcc
	v_mul_hi_u32 v9, v3, v7
	v_mul_lo_u32 v7, v3, v7
	v_add_co_u32_e32 v6, vcc, v6, v7
	v_mul_hi_u32 v8, v3, v4
	v_addc_co_u32_e32 v5, vcc, v5, v9, vcc
	v_addc_co_u32_e32 v6, vcc, 0, v8, vcc
	v_mul_lo_u32 v4, v3, v4
	v_add_co_u32_e32 v4, vcc, v5, v4
	v_addc_co_u32_e32 v5, vcc, 0, v6, vcc
	v_add_co_u32_e32 v2, vcc, v2, v4
	v_addc_co_u32_e32 v3, vcc, v3, v5, vcc
	v_mul_lo_u32 v4, s0, v3
	v_mul_hi_u32 v5, s0, v2
	v_add_u32_e32 v4, v5, v4
	v_mul_lo_u32 v5, s1, v2
	v_add_u32_e32 v4, v4, v5
	v_mul_lo_u32 v6, s0, v2
	v_mul_hi_u32 v7, v3, v6
	v_mul_lo_u32 v8, v3, v6
	v_mul_lo_u32 v10, v2, v4
	v_mul_hi_u32 v6, v2, v6
	v_mul_hi_u32 v9, v2, v4
	v_add_co_u32_e32 v6, vcc, v6, v10
	v_addc_co_u32_e32 v9, vcc, 0, v9, vcc
	v_add_co_u32_e32 v6, vcc, v6, v8
	v_mul_hi_u32 v5, v3, v4
	v_addc_co_u32_e32 v6, vcc, v9, v7, vcc
	v_addc_co_u32_e32 v5, vcc, 0, v5, vcc
	v_mul_lo_u32 v4, v3, v4
	v_add_co_u32_e32 v4, vcc, v6, v4
	v_addc_co_u32_e32 v5, vcc, 0, v5, vcc
	v_add_co_u32_e32 v4, vcc, v2, v4
	v_addc_co_u32_e32 v5, vcc, v3, v5, vcc
	v_ashrrev_i32_e32 v6, 31, v1
	v_add_co_u32_e32 v2, vcc, v0, v6
	v_addc_co_u32_e32 v3, vcc, v1, v6, vcc
	v_xor_b32_e32 v8, v2, v6
	v_xor_b32_e32 v7, v3, v6
	v_mad_u64_u32 v[2:3], s[0:1], v8, v5, 0
	v_mul_hi_u32 v9, v8, v4
	v_add_co_u32_e32 v9, vcc, v9, v2
	v_addc_co_u32_e32 v10, vcc, 0, v3, vcc
	v_mad_u64_u32 v[2:3], s[0:1], v7, v5, 0
	v_mad_u64_u32 v[4:5], s[0:1], v7, v4, 0
	v_add_co_u32_e32 v4, vcc, v9, v4
	v_addc_co_u32_e32 v4, vcc, v10, v5, vcc
	v_addc_co_u32_e32 v3, vcc, 0, v3, vcc
	v_add_co_u32_e32 v4, vcc, v4, v2
	v_addc_co_u32_e32 v5, vcc, 0, v3, vcc
	v_mul_lo_u32 v9, s19, v4
	v_mul_lo_u32 v10, s18, v5
	v_mad_u64_u32 v[2:3], s[0:1], s18, v4, 0
	v_add3_u32 v3, v3, v10, v9
	v_sub_u32_e32 v9, v7, v3
	v_mov_b32_e32 v10, s19
	v_sub_co_u32_e32 v2, vcc, v8, v2
	v_subb_co_u32_e64 v8, s[0:1], v9, v10, vcc
	v_subrev_co_u32_e64 v9, s[0:1], s18, v2
	v_subbrev_co_u32_e64 v8, s[0:1], 0, v8, s[0:1]
	v_cmp_le_u32_e64 s[0:1], s19, v8
	v_cndmask_b32_e64 v10, 0, -1, s[0:1]
	v_cmp_le_u32_e64 s[0:1], s18, v9
	v_cndmask_b32_e64 v9, 0, -1, s[0:1]
	v_cmp_eq_u32_e64 s[0:1], s19, v8
	v_cndmask_b32_e64 v8, v10, v9, s[0:1]
	v_add_co_u32_e64 v9, s[0:1], 2, v4
	v_subb_co_u32_e32 v3, vcc, v7, v3, vcc
	v_addc_co_u32_e64 v10, s[0:1], 0, v5, s[0:1]
	v_cmp_le_u32_e32 vcc, s19, v3
	v_add_co_u32_e64 v11, s[0:1], 1, v4
	v_cndmask_b32_e64 v7, 0, -1, vcc
	v_cmp_le_u32_e32 vcc, s18, v2
	v_addc_co_u32_e64 v12, s[0:1], 0, v5, s[0:1]
	v_cndmask_b32_e64 v2, 0, -1, vcc
	v_cmp_eq_u32_e32 vcc, s19, v3
	v_cmp_ne_u32_e64 s[0:1], 0, v8
	v_cndmask_b32_e32 v2, v7, v2, vcc
	v_cndmask_b32_e64 v8, v12, v10, s[0:1]
	v_cmp_ne_u32_e32 vcc, 0, v2
	v_cndmask_b32_e64 v3, v11, v9, s[0:1]
	v_cndmask_b32_e32 v2, v5, v8, vcc
	v_cndmask_b32_e32 v3, v4, v3, vcc
	v_xor_b32_e32 v4, s6, v6
	v_xor_b32_e32 v5, v2, v4
	;; [unrolled: 1-line block ×3, first 2 shown]
	v_sub_co_u32_e32 v2, vcc, v2, v4
	v_subb_co_u32_e32 v3, vcc, v5, v4, vcc
.LBB0_3:
	s_andn2_saveexec_b64 s[0:1], s[2:3]
	s_cbranch_execz .LBB0_5
; %bb.4:
	v_cvt_f32_u32_e32 v2, s16
	s_sub_i32 s2, 0, s16
	v_rcp_iflag_f32_e32 v2, v2
	v_mul_f32_e32 v2, 0x4f7ffffe, v2
	v_cvt_u32_f32_e32 v2, v2
	v_mul_lo_u32 v3, s2, v2
	v_mul_hi_u32 v3, v2, v3
	v_add_u32_e32 v2, v2, v3
	v_mul_hi_u32 v2, v0, v2
	v_mul_lo_u32 v3, v2, s16
	v_sub_u32_e32 v3, v0, v3
	v_add_u32_e32 v4, 1, v2
	v_subrev_u32_e32 v5, s16, v3
	v_cmp_le_u32_e32 vcc, s16, v3
	v_cndmask_b32_e32 v3, v3, v5, vcc
	v_cndmask_b32_e32 v2, v2, v4, vcc
	v_add_u32_e32 v4, 1, v2
	v_cmp_le_u32_e32 vcc, s16, v3
	v_cndmask_b32_e32 v2, v2, v4, vcc
	v_mov_b32_e32 v3, 0
.LBB0_5:
	s_or_b64 exec, exec, s[0:1]
	s_load_dwordx4 s[0:3], s[4:5], 0x40
	v_mul_lo_u32 v6, v3, s16
	v_mul_lo_u32 v7, v2, s17
	v_mad_u64_u32 v[4:5], s[4:5], v2, s16, 0
	v_add3_u32 v5, v5, v7, v6
	v_sub_co_u32_e32 v8, vcc, v0, v4
	v_subb_co_u32_e32 v9, vcc, v1, v5, vcc
	v_mul_lo_u32 v6, v3, s22
	v_mul_lo_u32 v7, v2, s23
	v_mad_u64_u32 v[4:5], s[4:5], v2, s22, 0
	v_add3_u32 v5, v5, v7, v6
	v_lshlrev_b64 v[4:5], 2, v[4:5]
	v_mov_b32_e32 v6, s9
	v_add_co_u32_e32 v7, vcc, s8, v4
	v_addc_co_u32_e32 v6, vcc, v6, v5, vcc
	v_mul_lo_u32 v10, v9, s20
	v_mul_lo_u32 v11, v8, s21
	v_mad_u64_u32 v[4:5], s[4:5], v8, s20, 0
	v_add3_u32 v5, v5, v11, v10
	v_lshlrev_b64 v[4:5], 2, v[4:5]
	v_add_co_u32_e32 v4, vcc, v7, v4
	v_addc_co_u32_e32 v5, vcc, v6, v5, vcc
	v_lshlrev_b64 v[0:1], 3, v[0:1]
	v_mov_b32_e32 v7, s13
	v_add_co_u32_e32 v6, vcc, s12, v0
	v_addc_co_u32_e32 v7, vcc, v7, v1, vcc
	global_store_dwordx2 v[6:7], v[4:5], off
	s_waitcnt lgkmcnt(0)
	v_mul_lo_u32 v4, v3, s2
	v_mul_lo_u32 v5, v2, s3
	v_mad_u64_u32 v[2:3], s[2:3], v2, s2, 0
	v_add3_u32 v3, v3, v5, v4
	v_lshlrev_b64 v[2:3], 2, v[2:3]
	v_mov_b32_e32 v4, s11
	v_add_co_u32_e32 v5, vcc, s10, v2
	v_addc_co_u32_e32 v4, vcc, v4, v3, vcc
	v_mul_lo_u32 v6, v9, s0
	v_mul_lo_u32 v7, v8, s1
	v_mad_u64_u32 v[2:3], s[0:1], v8, s0, 0
	v_add3_u32 v3, v3, v7, v6
	v_lshlrev_b64 v[2:3], 2, v[2:3]
	v_add_co_u32_e32 v2, vcc, v5, v2
	v_addc_co_u32_e32 v3, vcc, v4, v3, vcc
	v_mov_b32_e32 v4, s15
	v_add_co_u32_e32 v0, vcc, s14, v0
	v_addc_co_u32_e32 v1, vcc, v4, v1, vcc
	global_store_dwordx2 v[0:1], v[2:3], off
.LBB0_6:
	s_endpgm
	.section	.rodata,"a",@progbits
	.p2align	6, 0x0
	.amdhsa_kernel _ZL18get_batch_pointersPKfPfPS0_PS1_llmmmm
		.amdhsa_group_segment_fixed_size 0
		.amdhsa_private_segment_fixed_size 0
		.amdhsa_kernarg_size 336
		.amdhsa_user_sgpr_count 6
		.amdhsa_user_sgpr_private_segment_buffer 1
		.amdhsa_user_sgpr_dispatch_ptr 0
		.amdhsa_user_sgpr_queue_ptr 0
		.amdhsa_user_sgpr_kernarg_segment_ptr 1
		.amdhsa_user_sgpr_dispatch_id 0
		.amdhsa_user_sgpr_flat_scratch_init 0
		.amdhsa_user_sgpr_kernarg_preload_length 0
		.amdhsa_user_sgpr_kernarg_preload_offset 0
		.amdhsa_user_sgpr_private_segment_size 0
		.amdhsa_uses_dynamic_stack 0
		.amdhsa_system_sgpr_private_segment_wavefront_offset 0
		.amdhsa_system_sgpr_workgroup_id_x 1
		.amdhsa_system_sgpr_workgroup_id_y 0
		.amdhsa_system_sgpr_workgroup_id_z 0
		.amdhsa_system_sgpr_workgroup_info 0
		.amdhsa_system_vgpr_workitem_id 0
		.amdhsa_next_free_vgpr 13
		.amdhsa_next_free_sgpr 24
		.amdhsa_accum_offset 16
		.amdhsa_reserve_vcc 1
		.amdhsa_reserve_flat_scratch 0
		.amdhsa_float_round_mode_32 0
		.amdhsa_float_round_mode_16_64 0
		.amdhsa_float_denorm_mode_32 3
		.amdhsa_float_denorm_mode_16_64 3
		.amdhsa_dx10_clamp 1
		.amdhsa_ieee_mode 1
		.amdhsa_fp16_overflow 0
		.amdhsa_tg_split 0
		.amdhsa_exception_fp_ieee_invalid_op 0
		.amdhsa_exception_fp_denorm_src 0
		.amdhsa_exception_fp_ieee_div_zero 0
		.amdhsa_exception_fp_ieee_overflow 0
		.amdhsa_exception_fp_ieee_underflow 0
		.amdhsa_exception_fp_ieee_inexact 0
		.amdhsa_exception_int_div_zero 0
	.end_amdhsa_kernel
	.section	.text._ZL18get_batch_pointersPKfPfPS0_PS1_llmmmm,"axG",@progbits,_ZL18get_batch_pointersPKfPfPS0_PS1_llmmmm,comdat
.Lfunc_end0:
	.size	_ZL18get_batch_pointersPKfPfPS0_PS1_llmmmm, .Lfunc_end0-_ZL18get_batch_pointersPKfPfPS0_PS1_llmmmm
                                        ; -- End function
	.section	.AMDGPU.csdata,"",@progbits
; Kernel info:
; codeLenInByte = 1168
; NumSgprs: 28
; NumVgprs: 13
; NumAgprs: 0
; TotalNumVgprs: 13
; ScratchSize: 0
; MemoryBound: 0
; FloatMode: 240
; IeeeMode: 1
; LDSByteSize: 0 bytes/workgroup (compile time only)
; SGPRBlocks: 3
; VGPRBlocks: 1
; NumSGPRsForWavesPerEU: 28
; NumVGPRsForWavesPerEU: 13
; AccumOffset: 16
; Occupancy: 8
; WaveLimiterHint : 0
; COMPUTE_PGM_RSRC2:SCRATCH_EN: 0
; COMPUTE_PGM_RSRC2:USER_SGPR: 6
; COMPUTE_PGM_RSRC2:TRAP_HANDLER: 0
; COMPUTE_PGM_RSRC2:TGID_X_EN: 1
; COMPUTE_PGM_RSRC2:TGID_Y_EN: 0
; COMPUTE_PGM_RSRC2:TGID_Z_EN: 0
; COMPUTE_PGM_RSRC2:TIDIG_COMP_CNT: 0
; COMPUTE_PGM_RSRC3_GFX90A:ACCUM_OFFSET: 3
; COMPUTE_PGM_RSRC3_GFX90A:TG_SPLIT: 0
	.section	.text._ZL18solve_tri_f32_fastILi64ELi32EEvPKfS1_Pf15HIP_vector_typeIjLj3EEmmmmmmii,"axG",@progbits,_ZL18solve_tri_f32_fastILi64ELi32EEvPKfS1_Pf15HIP_vector_typeIjLj3EEmmmmmmii,comdat
	.globl	_ZL18solve_tri_f32_fastILi64ELi32EEvPKfS1_Pf15HIP_vector_typeIjLj3EEmmmmmmii ; -- Begin function _ZL18solve_tri_f32_fastILi64ELi32EEvPKfS1_Pf15HIP_vector_typeIjLj3EEmmmmmmii
	.p2align	8
	.type	_ZL18solve_tri_f32_fastILi64ELi32EEvPKfS1_Pf15HIP_vector_typeIjLj3EEmmmmmmii,@function
_ZL18solve_tri_f32_fastILi64ELi32EEvPKfS1_Pf15HIP_vector_typeIjLj3EEmmmmmmii: ; @_ZL18solve_tri_f32_fastILi64ELi32EEvPKfS1_Pf15HIP_vector_typeIjLj3EEmmmmmmii
; %bb.0:
	v_bfe_u32 v1, v0, 10, 10
	v_cmp_gt_u32_e32 vcc, 32, v1
	s_and_saveexec_b64 s[0:1], vcc
	s_cbranch_execz .LBB1_265
; %bb.1:
	s_load_dwordx4 s[0:3], s[4:5], 0x18
	s_load_dwordx2 s[16:17], s[4:5], 0x0
	s_load_dwordx8 s[8:15], s[4:5], 0x28
	v_and_b32_e32 v0, 0x3ff, v0
	s_waitcnt lgkmcnt(0)
	s_mul_hi_u32 s0, s0, s6
	s_add_i32 s0, s6, s0
	s_lshr_b32 s33, s0, s1
	s_mul_i32 s0, s33, s2
	s_sub_i32 s44, s6, s0
	s_mul_i32 s0, s44, s9
	s_mul_hi_u32 s1, s44, s8
	s_add_i32 s1, s1, s0
	s_mul_i32 s0, s44, s8
	s_lshl_b64 s[0:1], s[0:1], 2
	s_add_u32 s2, s16, s0
	s_load_dword s6, s[4:5], 0x6c
	s_addc_u32 s3, s17, s1
	s_mul_i32 s0, s33, s11
	s_mul_hi_u32 s1, s33, s10
	s_add_i32 s1, s1, s0
	s_mul_i32 s0, s33, s10
	s_lshl_b64 s[0:1], s[0:1], 2
	s_add_u32 s0, s2, s0
	s_addc_u32 s1, s3, s1
	s_waitcnt lgkmcnt(0)
	s_and_b32 s2, s6, 0xffff
	v_mad_u32_u24 v3, v1, s2, v0
	s_movk_i32 s2, 0x1000
	v_cmp_gt_u32_e32 vcc, s2, v3
	v_lshlrev_b32_e32 v2, 2, v3
	s_and_saveexec_b64 s[2:3], vcc
	s_cbranch_execz .LBB1_3
; %bb.2:
	global_load_dword v4, v2, s[0:1]
	s_waitcnt vmcnt(0)
	ds_write_b32 v2, v4
.LBB1_3:
	s_or_b64 exec, exec, s[2:3]
	s_load_dwordx4 s[8:11], s[4:5], 0x48
                                        ; implicit-def: $vgpr17 : SGPR spill to VGPR lane
	s_movk_i32 s2, 0xc00
	v_cmp_gt_u32_e32 vcc, s2, v3
	s_waitcnt lgkmcnt(0)
	v_writelane_b32 v17, s8, 0
	v_writelane_b32 v17, s9, 1
	;; [unrolled: 1-line block ×4, first 2 shown]
	s_and_saveexec_b64 s[2:3], vcc
	s_cbranch_execz .LBB1_5
; %bb.4:
	v_add_u32_e32 v4, 0x1000, v2
	global_load_dword v4, v4, s[0:1]
	s_waitcnt vmcnt(0)
	ds_write_b32 v2, v4 offset:4096
.LBB1_5:
	s_or_b64 exec, exec, s[2:3]
	s_load_dwordx2 s[2:3], s[4:5], 0x8
	s_movk_i32 s6, 0x800
	v_cmp_gt_u32_e32 vcc, s6, v3
	s_and_saveexec_b64 s[6:7], vcc
	s_cbranch_execz .LBB1_7
; %bb.6:
	v_or_b32_e32 v4, 0x2000, v2
	global_load_dword v4, v4, s[0:1]
	s_waitcnt vmcnt(0)
	ds_write_b32 v2, v4 offset:8192
.LBB1_7:
	s_or_b64 exec, exec, s[6:7]
	s_movk_i32 s6, 0x400
	v_cmp_gt_u32_e32 vcc, s6, v3
	s_and_saveexec_b64 s[6:7], vcc
	s_cbranch_execz .LBB1_9
; %bb.8:
	v_or_b32_e32 v3, 0x3000, v2
	global_load_dword v3, v3, s[0:1]
	s_waitcnt vmcnt(0)
	ds_write_b32 v2, v3 offset:12288
.LBB1_9:
	s_or_b64 exec, exec, s[6:7]
	s_mul_i32 s0, s44, s13
	s_mul_hi_u32 s1, s44, s12
	s_add_i32 s1, s1, s0
	s_mul_i32 s0, s44, s12
	s_mul_i32 s6, s33, s15
	s_mul_hi_u32 s7, s33, s14
	s_add_i32 s7, s7, s6
	s_lshl_b64 s[0:1], s[0:1], 2
	s_mul_i32 s6, s33, s14
	s_waitcnt lgkmcnt(0)
	s_add_u32 s2, s2, s0
	s_addc_u32 s3, s3, s1
	s_lshl_b64 s[0:1], s[6:7], 2
	s_add_u32 s0, s2, s0
	s_addc_u32 s1, s3, s1
	v_mov_b32_e32 v9, 0
	v_lshlrev_b32_e32 v1, 2, v1
	v_mov_b32_e32 v10, 0
	s_barrier
	v_cmp_gt_u32_e64 s[6:7], 64, v0
	s_mov_b64 s[2:3], exec
	v_writelane_b32 v17, s6, 4
	v_writelane_b32 v17, s7, 5
	s_and_b64 s[6:7], s[2:3], s[6:7]
	s_mov_b64 exec, s[6:7]
	s_cbranch_execz .LBB1_11
; %bb.10:
	v_lshl_or_b32 v2, v0, 7, v1
	global_load_dword v10, v2, s[0:1]
.LBB1_11:
	s_or_b64 exec, exec, s[2:3]
	v_add_u32_e32 v2, 32, v0
	v_cmp_gt_u32_e64 s[6:7], 32, v0
	s_mov_b64 s[2:3], exec
	v_writelane_b32 v17, s6, 6
	v_writelane_b32 v17, s7, 7
	s_and_b64 s[6:7], s[2:3], s[6:7]
	s_mov_b64 exec, s[6:7]
	s_cbranch_execz .LBB1_13
; %bb.12:
	v_lshl_or_b32 v3, v2, 7, v1
	global_load_dword v9, v3, s[0:1]
.LBB1_13:
	s_or_b64 exec, exec, s[2:3]
	v_mbcnt_lo_u32_b32 v3, -1, 0
	v_mbcnt_hi_u32_b32 v7, -1, v3
	v_and_b32_e32 v3, 0x60, v7
	v_add_u32_e32 v11, 32, v3
	v_xor_b32_e32 v3, 16, v7
	v_cmp_lt_i32_e32 vcc, v3, v11
	v_cndmask_b32_e32 v3, v7, v3, vcc
	v_mov_b32_e32 v8, 0
	v_lshlrev_b32_e32 v3, 2, v3
	ds_bpermute_b32 v5, v3, v8
	v_xor_b32_e32 v4, 8, v7
	v_cmp_lt_i32_e32 vcc, v4, v11
	v_cndmask_b32_e32 v4, v7, v4, vcc
	v_lshlrev_b32_e32 v4, 2, v4
	s_waitcnt lgkmcnt(0)
	v_add_f32_e32 v6, 0, v5
	ds_bpermute_b32 v12, v4, v6
	v_xor_b32_e32 v5, 4, v7
	v_cmp_lt_i32_e32 vcc, v5, v11
	v_cndmask_b32_e32 v5, v7, v5, vcc
	v_lshlrev_b32_e32 v5, 2, v5
	s_waitcnt lgkmcnt(0)
	v_add_f32_e32 v12, v6, v12
	ds_bpermute_b32 v13, v5, v12
	v_xor_b32_e32 v6, 2, v7
	v_cmp_lt_i32_e32 vcc, v6, v11
	v_cndmask_b32_e32 v6, v7, v6, vcc
	v_lshlrev_b32_e32 v6, 2, v6
	s_waitcnt lgkmcnt(0)
	v_add_f32_e32 v12, v12, v13
	ds_bpermute_b32 v13, v6, v12
	v_xor_b32_e32 v14, 1, v7
	v_cmp_lt_i32_e32 vcc, v14, v11
	v_cndmask_b32_e32 v7, v7, v14, vcc
	v_lshlrev_b32_e32 v7, 2, v7
	s_waitcnt lgkmcnt(0)
	v_add_f32_e32 v11, v12, v13
	ds_bpermute_b32 v12, v7, v11
	v_cmp_eq_u32_e64 s[6:7], 0, v0
	s_and_saveexec_b64 s[0:1], s[6:7]
	s_cbranch_execz .LBB1_15
; %bb.14:
	ds_read_b32 v13, v8
	s_waitcnt lgkmcnt(1)
	v_add_f32_e32 v11, v11, v12
	s_waitcnt vmcnt(0)
	v_sub_f32_e32 v10, v10, v11
	s_waitcnt lgkmcnt(0)
	v_div_scale_f32 v11, s[2:3], v13, v13, v10
	v_rcp_f32_e32 v12, v11
	v_div_scale_f32 v14, vcc, v10, v13, v10
	v_fma_f32 v15, -v11, v12, 1.0
	v_fmac_f32_e32 v12, v15, v12
	v_mul_f32_e32 v15, v14, v12
	v_fma_f32 v16, -v11, v15, v14
	v_fmac_f32_e32 v15, v16, v12
	v_fma_f32 v11, -v11, v15, v14
	v_div_fmas_f32 v11, v11, v12, v15
	v_div_fixup_f32 v10, v11, v13, v10
.LBB1_15:
	s_or_b64 exec, exec, s[0:1]
	ds_read_b32 v8, v8 offset:256
	v_cmp_eq_u32_e64 s[2:3], 1, v0
	s_waitcnt vmcnt(0) lgkmcnt(0)
	v_fma_f32 v8, v10, v8, 0
	v_cndmask_b32_e64 v8, 0, v8, s[6:7]
	ds_bpermute_b32 v11, v3, v8
	s_waitcnt lgkmcnt(0)
	v_add_f32_e32 v8, v8, v11
	ds_bpermute_b32 v11, v4, v8
	s_waitcnt lgkmcnt(0)
	v_add_f32_e32 v8, v8, v11
	;; [unrolled: 3-line block ×4, first 2 shown]
	ds_bpermute_b32 v11, v7, v8
	s_mov_b64 s[0:1], exec
	v_writelane_b32 v17, s2, 8
	v_writelane_b32 v17, s3, 9
	s_and_b64 s[2:3], s[0:1], s[2:3]
	s_mov_b64 exec, s[2:3]
	s_cbranch_execz .LBB1_17
; %bb.16:
	v_mov_b32_e32 v12, 0
	ds_read_b32 v12, v12 offset:260
	s_waitcnt lgkmcnt(1)
	v_add_f32_e32 v8, v8, v11
	v_sub_f32_e32 v8, v10, v8
	s_waitcnt lgkmcnt(0)
	v_div_scale_f32 v10, s[2:3], v12, v12, v8
	v_rcp_f32_e32 v11, v10
	v_div_scale_f32 v13, vcc, v8, v12, v8
	v_fma_f32 v14, -v10, v11, 1.0
	v_fmac_f32_e32 v11, v14, v11
	v_mul_f32_e32 v14, v13, v11
	v_fma_f32 v15, -v10, v14, v13
	v_fmac_f32_e32 v14, v15, v11
	v_fma_f32 v10, -v10, v14, v13
	v_div_fmas_f32 v10, v10, v11, v14
	v_div_fixup_f32 v10, v10, v12, v8
.LBB1_17:
	s_or_b64 exec, exec, s[0:1]
	s_waitcnt lgkmcnt(0)
	v_mov_b32_e32 v11, 0
	v_lshlrev_b32_e32 v8, 2, v0
	v_cmp_gt_u32_e64 s[2:3], 2, v0
	s_mov_b64 s[0:1], exec
	v_writelane_b32 v17, s2, 10
	v_writelane_b32 v17, s3, 11
	s_and_b64 s[2:3], s[0:1], s[2:3]
	s_mov_b64 exec, s[2:3]
	s_cbranch_execz .LBB1_19
; %bb.18:
	ds_read_b32 v11, v8 offset:512
	s_waitcnt lgkmcnt(0)
	v_fma_f32 v11, v10, v11, 0
.LBB1_19:
	s_or_b64 exec, exec, s[0:1]
	ds_bpermute_b32 v12, v3, v11
	v_cmp_eq_u32_e64 s[74:75], 2, v0
	s_waitcnt lgkmcnt(0)
	v_add_f32_e32 v11, v11, v12
	ds_bpermute_b32 v12, v4, v11
	s_waitcnt lgkmcnt(0)
	v_add_f32_e32 v11, v11, v12
	ds_bpermute_b32 v12, v5, v11
	s_waitcnt lgkmcnt(0)
	v_add_f32_e32 v11, v11, v12
	ds_bpermute_b32 v12, v6, v11
	s_waitcnt lgkmcnt(0)
	v_add_f32_e32 v11, v11, v12
	ds_bpermute_b32 v12, v7, v11
	s_and_saveexec_b64 s[0:1], s[74:75]
	s_cbranch_execz .LBB1_21
; %bb.20:
	v_mov_b32_e32 v13, 0
	ds_read_b32 v13, v13 offset:520
	s_waitcnt lgkmcnt(1)
	v_add_f32_e32 v11, v11, v12
	v_sub_f32_e32 v10, v10, v11
	s_waitcnt lgkmcnt(0)
	v_div_scale_f32 v11, s[2:3], v13, v13, v10
	v_rcp_f32_e32 v12, v11
	v_div_scale_f32 v14, vcc, v10, v13, v10
	v_fma_f32 v15, -v11, v12, 1.0
	v_fmac_f32_e32 v12, v15, v12
	v_mul_f32_e32 v15, v14, v12
	v_fma_f32 v16, -v11, v15, v14
	v_fmac_f32_e32 v15, v16, v12
	v_fma_f32 v11, -v11, v15, v14
	v_div_fmas_f32 v11, v11, v12, v15
	v_div_fixup_f32 v10, v11, v13, v10
.LBB1_21:
	s_or_b64 exec, exec, s[0:1]
	v_mov_b32_e32 v11, 0
	v_cmp_gt_u32_e64 s[2:3], 3, v0
	s_mov_b64 s[0:1], exec
	v_writelane_b32 v17, s2, 12
	v_writelane_b32 v17, s3, 13
	s_and_b64 s[2:3], s[0:1], s[2:3]
	s_mov_b64 exec, s[2:3]
	s_cbranch_execz .LBB1_23
; %bb.22:
	ds_read_b32 v11, v8 offset:768
	s_waitcnt lgkmcnt(0)
	v_fma_f32 v11, v10, v11, 0
.LBB1_23:
	s_or_b64 exec, exec, s[0:1]
	s_waitcnt lgkmcnt(0)
	ds_bpermute_b32 v12, v3, v11
	v_cmp_eq_u32_e64 s[76:77], 3, v0
	s_waitcnt lgkmcnt(0)
	v_add_f32_e32 v11, v11, v12
	ds_bpermute_b32 v12, v4, v11
	s_waitcnt lgkmcnt(0)
	v_add_f32_e32 v11, v11, v12
	ds_bpermute_b32 v12, v5, v11
	s_waitcnt lgkmcnt(0)
	v_add_f32_e32 v11, v11, v12
	ds_bpermute_b32 v12, v6, v11
	s_waitcnt lgkmcnt(0)
	v_add_f32_e32 v11, v11, v12
	ds_bpermute_b32 v12, v7, v11
	s_and_saveexec_b64 s[0:1], s[76:77]
	s_cbranch_execz .LBB1_25
; %bb.24:
	v_mov_b32_e32 v13, 0
	ds_read_b32 v13, v13 offset:780
	s_waitcnt lgkmcnt(1)
	v_add_f32_e32 v11, v11, v12
	v_sub_f32_e32 v10, v10, v11
	s_waitcnt lgkmcnt(0)
	v_div_scale_f32 v11, s[2:3], v13, v13, v10
	v_rcp_f32_e32 v12, v11
	v_div_scale_f32 v14, vcc, v10, v13, v10
	v_fma_f32 v15, -v11, v12, 1.0
	v_fmac_f32_e32 v12, v15, v12
	v_mul_f32_e32 v15, v14, v12
	v_fma_f32 v16, -v11, v15, v14
	v_fmac_f32_e32 v15, v16, v12
	v_fma_f32 v11, -v11, v15, v14
	v_div_fmas_f32 v11, v11, v12, v15
	v_div_fixup_f32 v10, v11, v13, v10
.LBB1_25:
	s_or_b64 exec, exec, s[0:1]
	v_mov_b32_e32 v11, 0
	v_cmp_gt_u32_e64 s[2:3], 4, v0
	s_mov_b64 s[0:1], exec
	v_writelane_b32 v17, s2, 14
	v_writelane_b32 v17, s3, 15
	s_and_b64 s[2:3], s[0:1], s[2:3]
	s_mov_b64 exec, s[2:3]
	s_cbranch_execz .LBB1_27
; %bb.26:
	ds_read_b32 v11, v8 offset:1024
	s_waitcnt lgkmcnt(0)
	v_fma_f32 v11, v10, v11, 0
.LBB1_27:
	s_or_b64 exec, exec, s[0:1]
	s_waitcnt lgkmcnt(0)
	;; [unrolled: 51-line block ×14, first 2 shown]
	ds_bpermute_b32 v12, v3, v11
	v_cmp_eq_u32_e64 s[10:11], 16, v0
	s_waitcnt lgkmcnt(0)
	v_add_f32_e32 v11, v11, v12
	ds_bpermute_b32 v12, v4, v11
	s_waitcnt lgkmcnt(0)
	v_add_f32_e32 v11, v11, v12
	ds_bpermute_b32 v12, v5, v11
	s_waitcnt lgkmcnt(0)
	v_add_f32_e32 v11, v11, v12
	ds_bpermute_b32 v12, v6, v11
	s_waitcnt lgkmcnt(0)
	v_add_f32_e32 v11, v11, v12
	ds_bpermute_b32 v12, v7, v11
	s_and_saveexec_b64 s[12:13], s[10:11]
	s_cbranch_execz .LBB1_77
; %bb.76:
	v_mov_b32_e32 v13, 0
	ds_read_b32 v13, v13 offset:4160
	s_waitcnt lgkmcnt(1)
	v_add_f32_e32 v11, v11, v12
	v_sub_f32_e32 v10, v10, v11
	s_waitcnt lgkmcnt(0)
	v_div_scale_f32 v11, s[14:15], v13, v13, v10
	v_rcp_f32_e32 v12, v11
	v_div_scale_f32 v14, vcc, v10, v13, v10
	v_fma_f32 v15, -v11, v12, 1.0
	v_fmac_f32_e32 v12, v15, v12
	v_mul_f32_e32 v15, v14, v12
	v_fma_f32 v16, -v11, v15, v14
	v_fmac_f32_e32 v15, v16, v12
	v_fma_f32 v11, -v11, v15, v14
	v_div_fmas_f32 v11, v11, v12, v15
	v_div_fixup_f32 v10, v11, v13, v10
.LBB1_77:
	s_or_b64 exec, exec, s[12:13]
	v_cmp_gt_u32_e64 s[46:47], 17, v0
	v_mov_b32_e32 v11, 0
	s_and_saveexec_b64 s[12:13], s[46:47]
	s_cbranch_execz .LBB1_79
; %bb.78:
	ds_read_b32 v11, v8 offset:4352
	s_waitcnt lgkmcnt(0)
	v_fma_f32 v11, v10, v11, 0
.LBB1_79:
	s_or_b64 exec, exec, s[12:13]
	s_waitcnt lgkmcnt(0)
	ds_bpermute_b32 v12, v3, v11
	v_cmp_eq_u32_e64 s[12:13], 17, v0
	s_waitcnt lgkmcnt(0)
	v_add_f32_e32 v11, v11, v12
	ds_bpermute_b32 v12, v4, v11
	s_waitcnt lgkmcnt(0)
	v_add_f32_e32 v11, v11, v12
	ds_bpermute_b32 v12, v5, v11
	s_waitcnt lgkmcnt(0)
	v_add_f32_e32 v11, v11, v12
	ds_bpermute_b32 v12, v6, v11
	s_waitcnt lgkmcnt(0)
	v_add_f32_e32 v11, v11, v12
	ds_bpermute_b32 v12, v7, v11
	s_and_saveexec_b64 s[14:15], s[12:13]
	s_cbranch_execz .LBB1_81
; %bb.80:
	v_mov_b32_e32 v13, 0
	ds_read_b32 v13, v13 offset:4420
	s_waitcnt lgkmcnt(1)
	v_add_f32_e32 v11, v11, v12
	v_sub_f32_e32 v10, v10, v11
	s_waitcnt lgkmcnt(0)
	v_div_scale_f32 v11, s[16:17], v13, v13, v10
	v_rcp_f32_e32 v12, v11
	v_div_scale_f32 v14, vcc, v10, v13, v10
	v_fma_f32 v15, -v11, v12, 1.0
	v_fmac_f32_e32 v12, v15, v12
	v_mul_f32_e32 v15, v14, v12
	v_fma_f32 v16, -v11, v15, v14
	v_fmac_f32_e32 v15, v16, v12
	v_fma_f32 v11, -v11, v15, v14
	v_div_fmas_f32 v11, v11, v12, v15
	v_div_fixup_f32 v10, v11, v13, v10
.LBB1_81:
	s_or_b64 exec, exec, s[14:15]
	v_cmp_gt_u32_e64 s[48:49], 18, v0
	v_mov_b32_e32 v11, 0
	s_and_saveexec_b64 s[14:15], s[48:49]
	s_cbranch_execz .LBB1_83
; %bb.82:
	ds_read_b32 v11, v8 offset:4608
	s_waitcnt lgkmcnt(0)
	v_fma_f32 v11, v10, v11, 0
.LBB1_83:
	s_or_b64 exec, exec, s[14:15]
	s_waitcnt lgkmcnt(0)
	;; [unrolled: 47-line block ×14, first 2 shown]
	ds_bpermute_b32 v12, v3, v11
	v_cmp_eq_u32_e64 s[40:41], 30, v0
	s_waitcnt lgkmcnt(0)
	v_add_f32_e32 v11, v11, v12
	ds_bpermute_b32 v12, v4, v11
	s_waitcnt lgkmcnt(0)
	v_add_f32_e32 v11, v11, v12
	ds_bpermute_b32 v12, v5, v11
	;; [unrolled: 3-line block ×4, first 2 shown]
	s_and_saveexec_b64 s[42:43], s[40:41]
	s_cbranch_execz .LBB1_133
; %bb.132:
	v_mov_b32_e32 v13, 0
	ds_read_b32 v13, v13 offset:7800
	s_waitcnt lgkmcnt(1)
	v_add_f32_e32 v11, v11, v12
	v_sub_f32_e32 v10, v10, v11
	s_waitcnt lgkmcnt(0)
	v_div_scale_f32 v11, vcc, v13, v13, v10
	v_rcp_f32_e32 v12, v11
	v_div_scale_f32 v14, vcc, v10, v13, v10
	v_fma_f32 v15, -v11, v12, 1.0
	v_fmac_f32_e32 v12, v15, v12
	v_mul_f32_e32 v15, v14, v12
	v_fma_f32 v16, -v11, v15, v14
	v_fmac_f32_e32 v15, v16, v12
	v_fma_f32 v11, -v11, v15, v14
	v_div_fmas_f32 v11, v11, v12, v15
	v_div_fixup_f32 v10, v11, v13, v10
.LBB1_133:
	s_or_b64 exec, exec, s[42:43]
	v_mov_b32_e32 v11, 0
	v_cmp_gt_u32_e32 vcc, 31, v0
	s_mov_b64 s[42:43], exec
	v_writelane_b32 v17, vcc_lo, 40
	v_writelane_b32 v17, vcc_hi, 41
	s_and_b64 vcc, s[42:43], vcc
	s_mov_b64 exec, vcc
	s_cbranch_execz .LBB1_135
; %bb.134:
	ds_read_b32 v11, v8 offset:7936
	s_waitcnt lgkmcnt(0)
	v_fma_f32 v11, v10, v11, 0
.LBB1_135:
	s_or_b64 exec, exec, s[42:43]
	s_waitcnt lgkmcnt(0)
	ds_bpermute_b32 v12, v3, v11
	v_cmp_eq_u32_e32 vcc, 31, v0
	s_waitcnt lgkmcnt(0)
	v_add_f32_e32 v11, v11, v12
	ds_bpermute_b32 v12, v4, v11
	s_waitcnt lgkmcnt(0)
	v_add_f32_e32 v11, v11, v12
	ds_bpermute_b32 v12, v5, v11
	;; [unrolled: 3-line block ×4, first 2 shown]
	s_mov_b64 s[42:43], exec
	v_writelane_b32 v17, vcc_lo, 42
	v_writelane_b32 v17, vcc_hi, 43
	s_and_b64 vcc, s[42:43], vcc
	s_mov_b64 exec, vcc
	s_cbranch_execz .LBB1_137
; %bb.136:
	v_mov_b32_e32 v13, 0
	ds_read_b32 v13, v13 offset:8060
	s_waitcnt lgkmcnt(1)
	v_add_f32_e32 v11, v11, v12
	v_sub_f32_e32 v10, v10, v11
	s_waitcnt lgkmcnt(0)
	v_div_scale_f32 v11, vcc, v13, v13, v10
	v_rcp_f32_e32 v12, v11
	v_div_scale_f32 v14, vcc, v10, v13, v10
	v_fma_f32 v15, -v11, v12, 1.0
	v_fmac_f32_e32 v12, v15, v12
	v_mul_f32_e32 v15, v14, v12
	v_fma_f32 v16, -v11, v15, v14
	v_fmac_f32_e32 v15, v16, v12
	v_fma_f32 v11, -v11, v15, v14
	v_div_fmas_f32 v11, v11, v12, v15
	v_div_fixup_f32 v10, v11, v13, v10
.LBB1_137:
	s_or_b64 exec, exec, s[42:43]
	ds_read_b32 v11, v8 offset:8192
	s_waitcnt lgkmcnt(0)
	v_mul_f32_e32 v12, v10, v11
	ds_bpermute_b32 v12, v3, v12
	s_waitcnt lgkmcnt(0)
	v_fmac_f32_e32 v12, v10, v11
	ds_bpermute_b32 v11, v4, v12
	s_waitcnt lgkmcnt(0)
	v_add_f32_e32 v11, v12, v11
	ds_bpermute_b32 v12, v5, v11
	s_waitcnt lgkmcnt(0)
	v_add_f32_e32 v11, v11, v12
	;; [unrolled: 3-line block ×3, first 2 shown]
	ds_bpermute_b32 v12, v7, v11
	s_and_saveexec_b64 s[42:43], s[6:7]
	s_cbranch_execz .LBB1_139
; %bb.138:
	v_mov_b32_e32 v13, 0
	ds_read_b32 v13, v13 offset:8320
	s_waitcnt lgkmcnt(1)
	v_add_f32_e32 v11, v11, v12
	v_sub_f32_e32 v9, v9, v11
	s_waitcnt lgkmcnt(0)
	v_div_scale_f32 v11, vcc, v13, v13, v9
	v_rcp_f32_e32 v12, v11
	v_div_scale_f32 v14, vcc, v9, v13, v9
	v_fma_f32 v15, -v11, v12, 1.0
	v_fmac_f32_e32 v12, v15, v12
	v_mul_f32_e32 v15, v14, v12
	v_fma_f32 v16, -v11, v15, v14
	v_fmac_f32_e32 v15, v16, v12
	v_fma_f32 v11, -v11, v15, v14
	v_div_fmas_f32 v11, v11, v12, v15
	v_div_fixup_f32 v9, v11, v13, v9
.LBB1_139:
	s_or_b64 exec, exec, s[42:43]
	v_mov_b32_e32 v11, 0
	s_waitcnt lgkmcnt(0)
	ds_read_b32 v12, v8 offset:8448
	ds_read_b32 v13, v11 offset:8576
	s_waitcnt lgkmcnt(1)
	v_mul_f32_e32 v12, v10, v12
	s_waitcnt lgkmcnt(0)
	v_fma_f32 v13, v9, v13, v12
	v_cndmask_b32_e64 v12, v12, v13, s[6:7]
	ds_bpermute_b32 v13, v3, v12
	s_waitcnt lgkmcnt(0)
	v_add_f32_e32 v12, v12, v13
	ds_bpermute_b32 v13, v4, v12
	s_waitcnt lgkmcnt(0)
	v_add_f32_e32 v12, v12, v13
	;; [unrolled: 3-line block ×4, first 2 shown]
	ds_bpermute_b32 v13, v7, v12
	s_mov_b64 s[6:7], exec
	v_readlane_b32 s42, v17, 8
	v_readlane_b32 s43, v17, 9
	s_and_b64 s[42:43], s[6:7], s[42:43]
	s_mov_b64 exec, s[42:43]
	s_cbranch_execz .LBB1_141
; %bb.140:
	ds_read_b32 v11, v11 offset:8580
	s_waitcnt lgkmcnt(1)
	v_add_f32_e32 v12, v12, v13
	v_sub_f32_e32 v9, v9, v12
	s_waitcnt lgkmcnt(0)
	v_div_scale_f32 v12, s[42:43], v11, v11, v9
	v_rcp_f32_e32 v13, v12
	v_div_scale_f32 v14, vcc, v9, v11, v9
	v_fma_f32 v15, -v12, v13, 1.0
	v_fmac_f32_e32 v13, v15, v13
	v_mul_f32_e32 v15, v14, v13
	v_fma_f32 v16, -v12, v15, v14
	v_fmac_f32_e32 v15, v16, v13
	v_fma_f32 v12, -v12, v15, v14
	v_div_fmas_f32 v12, v12, v13, v15
	v_div_fixup_f32 v9, v12, v11, v9
.LBB1_141:
	s_or_b64 exec, exec, s[6:7]
	ds_read_b32 v11, v8 offset:8704
	s_waitcnt lgkmcnt(0)
	v_mul_f32_e32 v11, v10, v11
	s_mov_b64 s[6:7], exec
	v_readlane_b32 s42, v17, 10
	v_readlane_b32 s43, v17, 11
	s_and_b64 s[42:43], s[6:7], s[42:43]
	s_mov_b64 exec, s[42:43]
	s_cbranch_execz .LBB1_143
; %bb.142:
	ds_read_b32 v12, v8 offset:8832
	s_waitcnt lgkmcnt(0)
	v_fmac_f32_e32 v11, v9, v12
.LBB1_143:
	s_or_b64 exec, exec, s[6:7]
	ds_bpermute_b32 v12, v3, v11
	s_waitcnt lgkmcnt(0)
	v_add_f32_e32 v11, v11, v12
	ds_bpermute_b32 v12, v4, v11
	s_waitcnt lgkmcnt(0)
	v_add_f32_e32 v11, v11, v12
	ds_bpermute_b32 v12, v5, v11
	s_waitcnt lgkmcnt(0)
	v_add_f32_e32 v11, v11, v12
	ds_bpermute_b32 v12, v6, v11
	s_waitcnt lgkmcnt(0)
	v_add_f32_e32 v11, v11, v12
	ds_bpermute_b32 v12, v7, v11
	s_and_saveexec_b64 s[6:7], s[74:75]
	s_cbranch_execz .LBB1_145
; %bb.144:
	v_mov_b32_e32 v13, 0
	ds_read_b32 v13, v13 offset:8840
	s_waitcnt lgkmcnt(1)
	v_add_f32_e32 v11, v11, v12
	v_sub_f32_e32 v9, v9, v11
	s_waitcnt lgkmcnt(0)
	v_div_scale_f32 v11, s[42:43], v13, v13, v9
	v_rcp_f32_e32 v12, v11
	v_div_scale_f32 v14, vcc, v9, v13, v9
	v_fma_f32 v15, -v11, v12, 1.0
	v_fmac_f32_e32 v12, v15, v12
	v_mul_f32_e32 v15, v14, v12
	v_fma_f32 v16, -v11, v15, v14
	v_fmac_f32_e32 v15, v16, v12
	v_fma_f32 v11, -v11, v15, v14
	v_div_fmas_f32 v11, v11, v12, v15
	v_div_fixup_f32 v9, v11, v13, v9
.LBB1_145:
	s_or_b64 exec, exec, s[6:7]
	ds_read_b32 v11, v8 offset:8960
	s_waitcnt lgkmcnt(0)
	v_mul_f32_e32 v11, v10, v11
	s_mov_b64 s[6:7], exec
	v_readlane_b32 s42, v17, 12
	v_readlane_b32 s43, v17, 13
	s_and_b64 s[42:43], s[6:7], s[42:43]
	s_mov_b64 exec, s[42:43]
	s_cbranch_execz .LBB1_147
; %bb.146:
	ds_read_b32 v12, v8 offset:9088
	s_waitcnt lgkmcnt(0)
	v_fmac_f32_e32 v11, v9, v12
.LBB1_147:
	s_or_b64 exec, exec, s[6:7]
	ds_bpermute_b32 v12, v3, v11
	s_waitcnt lgkmcnt(0)
	v_add_f32_e32 v11, v11, v12
	ds_bpermute_b32 v12, v4, v11
	s_waitcnt lgkmcnt(0)
	v_add_f32_e32 v11, v11, v12
	ds_bpermute_b32 v12, v5, v11
	s_waitcnt lgkmcnt(0)
	v_add_f32_e32 v11, v11, v12
	ds_bpermute_b32 v12, v6, v11
	s_waitcnt lgkmcnt(0)
	v_add_f32_e32 v11, v11, v12
	ds_bpermute_b32 v12, v7, v11
	s_and_saveexec_b64 s[6:7], s[76:77]
	s_cbranch_execz .LBB1_149
; %bb.148:
	v_mov_b32_e32 v13, 0
	ds_read_b32 v13, v13 offset:9100
	s_waitcnt lgkmcnt(1)
	v_add_f32_e32 v11, v11, v12
	v_sub_f32_e32 v9, v9, v11
	s_waitcnt lgkmcnt(0)
	v_div_scale_f32 v11, s[42:43], v13, v13, v9
	v_rcp_f32_e32 v12, v11
	v_div_scale_f32 v14, vcc, v9, v13, v9
	v_fma_f32 v15, -v11, v12, 1.0
	v_fmac_f32_e32 v12, v15, v12
	v_mul_f32_e32 v15, v14, v12
	v_fma_f32 v16, -v11, v15, v14
	v_fmac_f32_e32 v15, v16, v12
	v_fma_f32 v11, -v11, v15, v14
	v_div_fmas_f32 v11, v11, v12, v15
	v_div_fixup_f32 v9, v11, v13, v9
.LBB1_149:
	;; [unrolled: 50-line block ×15, first 2 shown]
	s_or_b64 exec, exec, s[0:1]
	ds_read_b32 v11, v8 offset:12544
	s_waitcnt lgkmcnt(0)
	v_mul_f32_e32 v11, v10, v11
	s_and_saveexec_b64 s[0:1], s[46:47]
	s_cbranch_execz .LBB1_203
; %bb.202:
	ds_read_b32 v12, v8 offset:12672
	s_waitcnt lgkmcnt(0)
	v_fmac_f32_e32 v11, v9, v12
.LBB1_203:
	s_or_b64 exec, exec, s[0:1]
	ds_bpermute_b32 v12, v3, v11
	s_waitcnt lgkmcnt(0)
	v_add_f32_e32 v11, v11, v12
	ds_bpermute_b32 v12, v4, v11
	s_waitcnt lgkmcnt(0)
	v_add_f32_e32 v11, v11, v12
	ds_bpermute_b32 v12, v5, v11
	s_waitcnt lgkmcnt(0)
	v_add_f32_e32 v11, v11, v12
	ds_bpermute_b32 v12, v6, v11
	s_waitcnt lgkmcnt(0)
	v_add_f32_e32 v11, v11, v12
	ds_bpermute_b32 v12, v7, v11
	s_and_saveexec_b64 s[0:1], s[12:13]
	s_cbranch_execz .LBB1_205
; %bb.204:
	v_mov_b32_e32 v13, 0
	ds_read_b32 v13, v13 offset:12740
	s_waitcnt lgkmcnt(1)
	v_add_f32_e32 v11, v11, v12
	v_sub_f32_e32 v9, v9, v11
	s_waitcnt lgkmcnt(0)
	v_div_scale_f32 v11, s[2:3], v13, v13, v9
	v_rcp_f32_e32 v12, v11
	v_div_scale_f32 v14, vcc, v9, v13, v9
	v_fma_f32 v15, -v11, v12, 1.0
	v_fmac_f32_e32 v12, v15, v12
	v_mul_f32_e32 v15, v14, v12
	v_fma_f32 v16, -v11, v15, v14
	v_fmac_f32_e32 v15, v16, v12
	v_fma_f32 v11, -v11, v15, v14
	v_div_fmas_f32 v11, v11, v12, v15
	v_div_fixup_f32 v9, v11, v13, v9
.LBB1_205:
	s_or_b64 exec, exec, s[0:1]
	ds_read_b32 v11, v8 offset:12800
	s_waitcnt lgkmcnt(0)
	v_mul_f32_e32 v11, v10, v11
	s_and_saveexec_b64 s[0:1], s[48:49]
	s_cbranch_execz .LBB1_207
; %bb.206:
	ds_read_b32 v12, v8 offset:12928
	s_waitcnt lgkmcnt(0)
	v_fmac_f32_e32 v11, v9, v12
.LBB1_207:
	s_or_b64 exec, exec, s[0:1]
	ds_bpermute_b32 v12, v3, v11
	s_waitcnt lgkmcnt(0)
	v_add_f32_e32 v11, v11, v12
	ds_bpermute_b32 v12, v4, v11
	s_waitcnt lgkmcnt(0)
	v_add_f32_e32 v11, v11, v12
	ds_bpermute_b32 v12, v5, v11
	s_waitcnt lgkmcnt(0)
	v_add_f32_e32 v11, v11, v12
	ds_bpermute_b32 v12, v6, v11
	s_waitcnt lgkmcnt(0)
	v_add_f32_e32 v11, v11, v12
	ds_bpermute_b32 v12, v7, v11
	s_and_saveexec_b64 s[0:1], s[14:15]
	s_cbranch_execz .LBB1_209
; %bb.208:
	v_mov_b32_e32 v13, 0
	ds_read_b32 v13, v13 offset:13000
	s_waitcnt lgkmcnt(1)
	v_add_f32_e32 v11, v11, v12
	v_sub_f32_e32 v9, v9, v11
	s_waitcnt lgkmcnt(0)
	v_div_scale_f32 v11, s[2:3], v13, v13, v9
	v_rcp_f32_e32 v12, v11
	v_div_scale_f32 v14, vcc, v9, v13, v9
	v_fma_f32 v15, -v11, v12, 1.0
	v_fmac_f32_e32 v12, v15, v12
	v_mul_f32_e32 v15, v14, v12
	v_fma_f32 v16, -v11, v15, v14
	v_fmac_f32_e32 v15, v16, v12
	v_fma_f32 v11, -v11, v15, v14
	v_div_fmas_f32 v11, v11, v12, v15
	v_div_fixup_f32 v9, v11, v13, v9
.LBB1_209:
	;; [unrolled: 46-line block ×14, first 2 shown]
	s_or_b64 exec, exec, s[0:1]
	ds_read_b32 v11, v8 offset:16128
	s_load_dwordx2 s[0:1], s[4:5], 0x10
	s_waitcnt lgkmcnt(0)
	v_mul_f32_e32 v11, v10, v11
	s_mov_b64 s[2:3], exec
	v_readlane_b32 s4, v17, 40
	v_readlane_b32 s5, v17, 41
	s_and_b64 s[4:5], s[2:3], s[4:5]
	s_mov_b64 exec, s[4:5]
	s_cbranch_execz .LBB1_259
; %bb.258:
	ds_read_b32 v8, v8 offset:16256
	s_waitcnt lgkmcnt(0)
	v_fmac_f32_e32 v11, v9, v8
.LBB1_259:
	s_or_b64 exec, exec, s[2:3]
	ds_bpermute_b32 v3, v3, v11
	s_waitcnt lgkmcnt(0)
	v_add_f32_e32 v3, v11, v3
	ds_bpermute_b32 v4, v4, v3
	s_waitcnt lgkmcnt(0)
	v_add_f32_e32 v3, v3, v4
	;; [unrolled: 3-line block ×4, first 2 shown]
	ds_bpermute_b32 v4, v7, v3
	s_mov_b64 s[2:3], exec
	v_readlane_b32 s4, v17, 42
	v_readlane_b32 s5, v17, 43
	s_and_b64 s[4:5], s[2:3], s[4:5]
	s_mov_b64 exec, s[4:5]
	s_cbranch_execz .LBB1_261
; %bb.260:
	v_mov_b32_e32 v5, 0
	ds_read_b32 v5, v5 offset:16380
	s_waitcnt lgkmcnt(1)
	v_add_f32_e32 v3, v3, v4
	v_sub_f32_e32 v3, v9, v3
	s_waitcnt lgkmcnt(0)
	v_div_scale_f32 v4, s[4:5], v5, v5, v3
	v_rcp_f32_e32 v6, v4
	v_div_scale_f32 v7, vcc, v3, v5, v3
	v_fma_f32 v8, -v4, v6, 1.0
	v_fmac_f32_e32 v6, v8, v6
	v_mul_f32_e32 v8, v7, v6
	v_fma_f32 v9, -v4, v8, v7
	v_fmac_f32_e32 v8, v9, v6
	v_fma_f32 v4, -v4, v8, v7
	v_div_fmas_f32 v4, v4, v6, v8
	v_div_fixup_f32 v9, v4, v5, v3
.LBB1_261:
	s_or_b64 exec, exec, s[2:3]
	v_readlane_b32 s4, v17, 0
	v_readlane_b32 s5, v17, 1
	;; [unrolled: 1-line block ×4, first 2 shown]
	s_mul_i32 s2, s44, s5
	s_mul_hi_u32 s3, s44, s4
	s_add_i32 s3, s3, s2
	s_mul_i32 s2, s44, s4
	s_mul_i32 s4, s33, s7
	s_mul_hi_u32 s5, s33, s6
	s_add_i32 s5, s5, s4
	s_lshl_b64 s[2:3], s[2:3], 2
	s_mul_i32 s4, s33, s6
	s_add_u32 s2, s0, s2
	s_addc_u32 s3, s1, s3
	s_lshl_b64 s[0:1], s[4:5], 2
	s_add_u32 s0, s2, s0
	s_addc_u32 s1, s3, s1
	s_mov_b64 s[2:3], exec
	v_readlane_b32 s4, v17, 4
	v_readlane_b32 s5, v17, 5
	s_and_b64 s[4:5], s[2:3], s[4:5]
	s_mov_b64 exec, s[4:5]
	s_cbranch_execz .LBB1_263
; %bb.262:
	v_readlane_b32 s4, v17, 6
	v_readlane_b32 s5, v17, 7
	v_lshl_or_b32 v0, v0, 7, v1
	v_cndmask_b32_e64 v3, v9, v10, s[4:5]
	global_store_dword v0, v3, s[0:1]
.LBB1_263:
	s_or_b64 exec, exec, s[2:3]
	v_readlane_b32 s2, v17, 6
	v_readlane_b32 s3, v17, 7
	s_and_b64 exec, exec, s[2:3]
	s_cbranch_execz .LBB1_265
; %bb.264:
	v_lshl_or_b32 v0, v2, 7, v1
	global_store_dword v0, v9, s[0:1]
.LBB1_265:
	s_endpgm
	.section	.rodata,"a",@progbits
	.p2align	6, 0x0
	.amdhsa_kernel _ZL18solve_tri_f32_fastILi64ELi32EEvPKfS1_Pf15HIP_vector_typeIjLj3EEmmmmmmii
		.amdhsa_group_segment_fixed_size 16384
		.amdhsa_private_segment_fixed_size 0
		.amdhsa_kernarg_size 352
		.amdhsa_user_sgpr_count 6
		.amdhsa_user_sgpr_private_segment_buffer 1
		.amdhsa_user_sgpr_dispatch_ptr 0
		.amdhsa_user_sgpr_queue_ptr 0
		.amdhsa_user_sgpr_kernarg_segment_ptr 1
		.amdhsa_user_sgpr_dispatch_id 0
		.amdhsa_user_sgpr_flat_scratch_init 0
		.amdhsa_user_sgpr_kernarg_preload_length 0
		.amdhsa_user_sgpr_kernarg_preload_offset 0
		.amdhsa_user_sgpr_private_segment_size 0
		.amdhsa_uses_dynamic_stack 0
		.amdhsa_system_sgpr_private_segment_wavefront_offset 0
		.amdhsa_system_sgpr_workgroup_id_x 1
		.amdhsa_system_sgpr_workgroup_id_y 0
		.amdhsa_system_sgpr_workgroup_id_z 0
		.amdhsa_system_sgpr_workgroup_info 0
		.amdhsa_system_vgpr_workitem_id 1
		.amdhsa_next_free_vgpr 18
		.amdhsa_next_free_sgpr 96
		.amdhsa_accum_offset 20
		.amdhsa_reserve_vcc 1
		.amdhsa_reserve_flat_scratch 0
		.amdhsa_float_round_mode_32 0
		.amdhsa_float_round_mode_16_64 0
		.amdhsa_float_denorm_mode_32 3
		.amdhsa_float_denorm_mode_16_64 3
		.amdhsa_dx10_clamp 1
		.amdhsa_ieee_mode 1
		.amdhsa_fp16_overflow 0
		.amdhsa_tg_split 0
		.amdhsa_exception_fp_ieee_invalid_op 0
		.amdhsa_exception_fp_denorm_src 0
		.amdhsa_exception_fp_ieee_div_zero 0
		.amdhsa_exception_fp_ieee_overflow 0
		.amdhsa_exception_fp_ieee_underflow 0
		.amdhsa_exception_fp_ieee_inexact 0
		.amdhsa_exception_int_div_zero 0
	.end_amdhsa_kernel
	.section	.text._ZL18solve_tri_f32_fastILi64ELi32EEvPKfS1_Pf15HIP_vector_typeIjLj3EEmmmmmmii,"axG",@progbits,_ZL18solve_tri_f32_fastILi64ELi32EEvPKfS1_Pf15HIP_vector_typeIjLj3EEmmmmmmii,comdat
.Lfunc_end1:
	.size	_ZL18solve_tri_f32_fastILi64ELi32EEvPKfS1_Pf15HIP_vector_typeIjLj3EEmmmmmmii, .Lfunc_end1-_ZL18solve_tri_f32_fastILi64ELi32EEvPKfS1_Pf15HIP_vector_typeIjLj3EEmmmmmmii
                                        ; -- End function
	.section	.AMDGPU.csdata,"",@progbits
; Kernel info:
; codeLenInByte = 16672
; NumSgprs: 100
; NumVgprs: 18
; NumAgprs: 0
; TotalNumVgprs: 18
; ScratchSize: 0
; MemoryBound: 0
; FloatMode: 240
; IeeeMode: 1
; LDSByteSize: 16384 bytes/workgroup (compile time only)
; SGPRBlocks: 12
; VGPRBlocks: 2
; NumSGPRsForWavesPerEU: 100
; NumVGPRsForWavesPerEU: 18
; AccumOffset: 20
; Occupancy: 8
; WaveLimiterHint : 0
; COMPUTE_PGM_RSRC2:SCRATCH_EN: 0
; COMPUTE_PGM_RSRC2:USER_SGPR: 6
; COMPUTE_PGM_RSRC2:TRAP_HANDLER: 0
; COMPUTE_PGM_RSRC2:TGID_X_EN: 1
; COMPUTE_PGM_RSRC2:TGID_Y_EN: 0
; COMPUTE_PGM_RSRC2:TGID_Z_EN: 0
; COMPUTE_PGM_RSRC2:TIDIG_COMP_CNT: 1
; COMPUTE_PGM_RSRC3_GFX90A:ACCUM_OFFSET: 4
; COMPUTE_PGM_RSRC3_GFX90A:TG_SPLIT: 0
	.section	.text._ZL18solve_tri_f32_fastILi64ELi16EEvPKfS1_Pf15HIP_vector_typeIjLj3EEmmmmmmii,"axG",@progbits,_ZL18solve_tri_f32_fastILi64ELi16EEvPKfS1_Pf15HIP_vector_typeIjLj3EEmmmmmmii,comdat
	.globl	_ZL18solve_tri_f32_fastILi64ELi16EEvPKfS1_Pf15HIP_vector_typeIjLj3EEmmmmmmii ; -- Begin function _ZL18solve_tri_f32_fastILi64ELi16EEvPKfS1_Pf15HIP_vector_typeIjLj3EEmmmmmmii
	.p2align	8
	.type	_ZL18solve_tri_f32_fastILi64ELi16EEvPKfS1_Pf15HIP_vector_typeIjLj3EEmmmmmmii,@function
_ZL18solve_tri_f32_fastILi64ELi16EEvPKfS1_Pf15HIP_vector_typeIjLj3EEmmmmmmii: ; @_ZL18solve_tri_f32_fastILi64ELi16EEvPKfS1_Pf15HIP_vector_typeIjLj3EEmmmmmmii
; %bb.0:
	v_bfe_u32 v1, v0, 10, 10
	v_cmp_gt_u32_e32 vcc, 16, v1
	s_and_saveexec_b64 s[0:1], vcc
	s_cbranch_execz .LBB2_273
; %bb.1:
	s_load_dwordx4 s[0:3], s[4:5], 0x18
	s_load_dwordx2 s[16:17], s[4:5], 0x0
	s_load_dwordx8 s[8:15], s[4:5], 0x28
	v_and_b32_e32 v0, 0x3ff, v0
	s_waitcnt lgkmcnt(0)
	s_mul_hi_u32 s0, s0, s6
	s_add_i32 s0, s6, s0
	s_lshr_b32 s33, s0, s1
	s_mul_i32 s0, s33, s2
	s_sub_i32 s44, s6, s0
	s_mul_i32 s0, s44, s9
	s_mul_hi_u32 s1, s44, s8
	s_add_i32 s1, s1, s0
	s_mul_i32 s0, s44, s8
	s_lshl_b64 s[0:1], s[0:1], 2
	s_add_u32 s2, s16, s0
	s_load_dword s6, s[4:5], 0x6c
	s_addc_u32 s3, s17, s1
	s_mul_i32 s0, s33, s11
	s_mul_hi_u32 s1, s33, s10
	s_add_i32 s1, s1, s0
	s_mul_i32 s0, s33, s10
	s_lshl_b64 s[0:1], s[0:1], 2
	s_add_u32 s0, s2, s0
	s_addc_u32 s1, s3, s1
	s_waitcnt lgkmcnt(0)
	s_and_b32 s2, s6, 0xffff
	v_mad_u32_u24 v3, v1, s2, v0
	s_movk_i32 s2, 0x1000
	v_cmp_gt_u32_e32 vcc, s2, v3
	v_lshlrev_b32_e32 v2, 2, v3
	s_and_saveexec_b64 s[2:3], vcc
	s_cbranch_execz .LBB2_3
; %bb.2:
	global_load_dword v4, v2, s[0:1]
	s_waitcnt vmcnt(0)
	ds_write_b32 v2, v4
.LBB2_3:
	s_or_b64 exec, exec, s[2:3]
	s_movk_i32 s2, 0xe00
	v_cmp_gt_u32_e32 vcc, s2, v3
	s_and_saveexec_b64 s[2:3], vcc
	s_cbranch_execz .LBB2_5
; %bb.4:
	global_load_dword v4, v2, s[0:1] offset:2048
	s_waitcnt vmcnt(0)
	ds_write_b32 v2, v4 offset:2048
.LBB2_5:
	s_or_b64 exec, exec, s[2:3]
	s_movk_i32 s2, 0xc00
	v_cmp_gt_u32_e32 vcc, s2, v3
	s_and_saveexec_b64 s[2:3], vcc
	s_cbranch_execz .LBB2_7
; %bb.6:
	v_add_u32_e32 v4, 0x1000, v2
	global_load_dword v4, v4, s[0:1]
	s_waitcnt vmcnt(0)
	ds_write_b32 v2, v4 offset:4096
.LBB2_7:
	s_or_b64 exec, exec, s[2:3]
	s_movk_i32 s2, 0xa00
	v_cmp_gt_u32_e32 vcc, s2, v3
	s_and_saveexec_b64 s[2:3], vcc
	s_cbranch_execz .LBB2_9
; %bb.8:
	v_add_u32_e32 v4, 0x1800, v2
	global_load_dword v4, v4, s[0:1]
	s_waitcnt vmcnt(0)
	ds_write_b32 v2, v4 offset:6144
.LBB2_9:
	s_or_b64 exec, exec, s[2:3]
	s_movk_i32 s2, 0x800
	v_cmp_gt_u32_e32 vcc, s2, v3
	s_and_saveexec_b64 s[2:3], vcc
	s_cbranch_execz .LBB2_11
; %bb.10:
	v_or_b32_e32 v4, 0x2000, v2
	global_load_dword v4, v4, s[0:1]
	s_waitcnt vmcnt(0)
	ds_write_b32 v2, v4 offset:8192
.LBB2_11:
	s_or_b64 exec, exec, s[2:3]
	s_load_dwordx4 s[8:11], s[4:5], 0x48
                                        ; implicit-def: $vgpr17 : SGPR spill to VGPR lane
	s_movk_i32 s2, 0x600
	v_cmp_gt_u32_e32 vcc, s2, v3
	s_waitcnt lgkmcnt(0)
	v_writelane_b32 v17, s8, 0
	v_writelane_b32 v17, s9, 1
	;; [unrolled: 1-line block ×4, first 2 shown]
	s_and_saveexec_b64 s[2:3], vcc
	s_cbranch_execz .LBB2_13
; %bb.12:
	v_add_u32_e32 v4, 0x2800, v2
	global_load_dword v4, v4, s[0:1]
	s_waitcnt vmcnt(0)
	ds_write_b32 v2, v4 offset:10240
.LBB2_13:
	s_or_b64 exec, exec, s[2:3]
	s_load_dwordx2 s[2:3], s[4:5], 0x8
	s_movk_i32 s6, 0x400
	v_cmp_gt_u32_e32 vcc, s6, v3
	s_and_saveexec_b64 s[6:7], vcc
	s_cbranch_execz .LBB2_15
; %bb.14:
	v_or_b32_e32 v4, 0x3000, v2
	global_load_dword v4, v4, s[0:1]
	s_waitcnt vmcnt(0)
	ds_write_b32 v2, v4 offset:12288
.LBB2_15:
	s_or_b64 exec, exec, s[6:7]
	s_movk_i32 s6, 0x200
	v_cmp_gt_u32_e32 vcc, s6, v3
	s_and_saveexec_b64 s[6:7], vcc
	s_cbranch_execz .LBB2_17
; %bb.16:
	v_or_b32_e32 v3, 0x3800, v2
	global_load_dword v3, v3, s[0:1]
	s_waitcnt vmcnt(0)
	ds_write_b32 v2, v3 offset:14336
.LBB2_17:
	s_or_b64 exec, exec, s[6:7]
	s_mul_i32 s0, s44, s13
	s_mul_hi_u32 s1, s44, s12
	s_add_i32 s1, s1, s0
	s_mul_i32 s0, s44, s12
	s_mul_i32 s6, s33, s15
	s_mul_hi_u32 s7, s33, s14
	s_add_i32 s7, s7, s6
	s_lshl_b64 s[0:1], s[0:1], 2
	s_mul_i32 s6, s33, s14
	s_waitcnt lgkmcnt(0)
	s_add_u32 s2, s2, s0
	s_addc_u32 s3, s3, s1
	s_lshl_b64 s[0:1], s[6:7], 2
	s_add_u32 s0, s2, s0
	s_addc_u32 s1, s3, s1
	v_mov_b32_e32 v9, 0
	v_lshlrev_b32_e32 v1, 2, v1
	v_mov_b32_e32 v10, 0
	s_barrier
	v_cmp_gt_u32_e64 s[6:7], 64, v0
	s_mov_b64 s[2:3], exec
	v_writelane_b32 v17, s6, 4
	v_writelane_b32 v17, s7, 5
	s_and_b64 s[6:7], s[2:3], s[6:7]
	s_mov_b64 exec, s[6:7]
	s_cbranch_execz .LBB2_19
; %bb.18:
	v_lshl_or_b32 v2, v0, 6, v1
	global_load_dword v10, v2, s[0:1]
.LBB2_19:
	s_or_b64 exec, exec, s[2:3]
	v_add_u32_e32 v2, 32, v0
	v_cmp_gt_u32_e64 s[6:7], 32, v0
	s_mov_b64 s[2:3], exec
	v_writelane_b32 v17, s6, 6
	v_writelane_b32 v17, s7, 7
	s_and_b64 s[6:7], s[2:3], s[6:7]
	s_mov_b64 exec, s[6:7]
	s_cbranch_execz .LBB2_21
; %bb.20:
	v_lshl_or_b32 v3, v2, 6, v1
	global_load_dword v9, v3, s[0:1]
.LBB2_21:
	s_or_b64 exec, exec, s[2:3]
	v_mbcnt_lo_u32_b32 v3, -1, 0
	v_mbcnt_hi_u32_b32 v7, -1, v3
	v_and_b32_e32 v3, 0x60, v7
	v_add_u32_e32 v11, 32, v3
	v_xor_b32_e32 v3, 16, v7
	v_cmp_lt_i32_e32 vcc, v3, v11
	v_cndmask_b32_e32 v3, v7, v3, vcc
	v_mov_b32_e32 v8, 0
	v_lshlrev_b32_e32 v3, 2, v3
	ds_bpermute_b32 v5, v3, v8
	v_xor_b32_e32 v4, 8, v7
	v_cmp_lt_i32_e32 vcc, v4, v11
	v_cndmask_b32_e32 v4, v7, v4, vcc
	v_lshlrev_b32_e32 v4, 2, v4
	s_waitcnt lgkmcnt(0)
	v_add_f32_e32 v6, 0, v5
	ds_bpermute_b32 v12, v4, v6
	v_xor_b32_e32 v5, 4, v7
	v_cmp_lt_i32_e32 vcc, v5, v11
	v_cndmask_b32_e32 v5, v7, v5, vcc
	v_lshlrev_b32_e32 v5, 2, v5
	s_waitcnt lgkmcnt(0)
	v_add_f32_e32 v12, v6, v12
	;; [unrolled: 7-line block ×4, first 2 shown]
	ds_bpermute_b32 v12, v7, v11
	v_cmp_eq_u32_e64 s[6:7], 0, v0
	s_and_saveexec_b64 s[0:1], s[6:7]
	s_cbranch_execz .LBB2_23
; %bb.22:
	ds_read_b32 v13, v8
	s_waitcnt lgkmcnt(1)
	v_add_f32_e32 v11, v11, v12
	s_waitcnt vmcnt(0)
	v_sub_f32_e32 v10, v10, v11
	s_waitcnt lgkmcnt(0)
	v_div_scale_f32 v11, s[2:3], v13, v13, v10
	v_rcp_f32_e32 v12, v11
	v_div_scale_f32 v14, vcc, v10, v13, v10
	v_fma_f32 v15, -v11, v12, 1.0
	v_fmac_f32_e32 v12, v15, v12
	v_mul_f32_e32 v15, v14, v12
	v_fma_f32 v16, -v11, v15, v14
	v_fmac_f32_e32 v15, v16, v12
	v_fma_f32 v11, -v11, v15, v14
	v_div_fmas_f32 v11, v11, v12, v15
	v_div_fixup_f32 v10, v11, v13, v10
.LBB2_23:
	s_or_b64 exec, exec, s[0:1]
	ds_read_b32 v8, v8 offset:256
	v_cmp_eq_u32_e64 s[2:3], 1, v0
	s_waitcnt vmcnt(0) lgkmcnt(0)
	v_fma_f32 v8, v10, v8, 0
	v_cndmask_b32_e64 v8, 0, v8, s[6:7]
	ds_bpermute_b32 v11, v3, v8
	s_waitcnt lgkmcnt(0)
	v_add_f32_e32 v8, v8, v11
	ds_bpermute_b32 v11, v4, v8
	s_waitcnt lgkmcnt(0)
	v_add_f32_e32 v8, v8, v11
	;; [unrolled: 3-line block ×4, first 2 shown]
	ds_bpermute_b32 v11, v7, v8
	s_mov_b64 s[0:1], exec
	v_writelane_b32 v17, s2, 8
	v_writelane_b32 v17, s3, 9
	s_and_b64 s[2:3], s[0:1], s[2:3]
	s_mov_b64 exec, s[2:3]
	s_cbranch_execz .LBB2_25
; %bb.24:
	v_mov_b32_e32 v12, 0
	ds_read_b32 v12, v12 offset:260
	s_waitcnt lgkmcnt(1)
	v_add_f32_e32 v8, v8, v11
	v_sub_f32_e32 v8, v10, v8
	s_waitcnt lgkmcnt(0)
	v_div_scale_f32 v10, s[2:3], v12, v12, v8
	v_rcp_f32_e32 v11, v10
	v_div_scale_f32 v13, vcc, v8, v12, v8
	v_fma_f32 v14, -v10, v11, 1.0
	v_fmac_f32_e32 v11, v14, v11
	v_mul_f32_e32 v14, v13, v11
	v_fma_f32 v15, -v10, v14, v13
	v_fmac_f32_e32 v14, v15, v11
	v_fma_f32 v10, -v10, v14, v13
	v_div_fmas_f32 v10, v10, v11, v14
	v_div_fixup_f32 v10, v10, v12, v8
.LBB2_25:
	s_or_b64 exec, exec, s[0:1]
	s_waitcnt lgkmcnt(0)
	v_mov_b32_e32 v11, 0
	v_lshlrev_b32_e32 v8, 2, v0
	v_cmp_gt_u32_e64 s[2:3], 2, v0
	s_mov_b64 s[0:1], exec
	v_writelane_b32 v17, s2, 10
	v_writelane_b32 v17, s3, 11
	s_and_b64 s[2:3], s[0:1], s[2:3]
	s_mov_b64 exec, s[2:3]
	s_cbranch_execz .LBB2_27
; %bb.26:
	ds_read_b32 v11, v8 offset:512
	s_waitcnt lgkmcnt(0)
	v_fma_f32 v11, v10, v11, 0
.LBB2_27:
	s_or_b64 exec, exec, s[0:1]
	ds_bpermute_b32 v12, v3, v11
	v_cmp_eq_u32_e64 s[74:75], 2, v0
	s_waitcnt lgkmcnt(0)
	v_add_f32_e32 v11, v11, v12
	ds_bpermute_b32 v12, v4, v11
	s_waitcnt lgkmcnt(0)
	v_add_f32_e32 v11, v11, v12
	ds_bpermute_b32 v12, v5, v11
	s_waitcnt lgkmcnt(0)
	v_add_f32_e32 v11, v11, v12
	ds_bpermute_b32 v12, v6, v11
	s_waitcnt lgkmcnt(0)
	v_add_f32_e32 v11, v11, v12
	ds_bpermute_b32 v12, v7, v11
	s_and_saveexec_b64 s[0:1], s[74:75]
	s_cbranch_execz .LBB2_29
; %bb.28:
	v_mov_b32_e32 v13, 0
	ds_read_b32 v13, v13 offset:520
	s_waitcnt lgkmcnt(1)
	v_add_f32_e32 v11, v11, v12
	v_sub_f32_e32 v10, v10, v11
	s_waitcnt lgkmcnt(0)
	v_div_scale_f32 v11, s[2:3], v13, v13, v10
	v_rcp_f32_e32 v12, v11
	v_div_scale_f32 v14, vcc, v10, v13, v10
	v_fma_f32 v15, -v11, v12, 1.0
	v_fmac_f32_e32 v12, v15, v12
	v_mul_f32_e32 v15, v14, v12
	v_fma_f32 v16, -v11, v15, v14
	v_fmac_f32_e32 v15, v16, v12
	v_fma_f32 v11, -v11, v15, v14
	v_div_fmas_f32 v11, v11, v12, v15
	v_div_fixup_f32 v10, v11, v13, v10
.LBB2_29:
	s_or_b64 exec, exec, s[0:1]
	v_mov_b32_e32 v11, 0
	v_cmp_gt_u32_e64 s[2:3], 3, v0
	s_mov_b64 s[0:1], exec
	v_writelane_b32 v17, s2, 12
	v_writelane_b32 v17, s3, 13
	s_and_b64 s[2:3], s[0:1], s[2:3]
	s_mov_b64 exec, s[2:3]
	s_cbranch_execz .LBB2_31
; %bb.30:
	ds_read_b32 v11, v8 offset:768
	s_waitcnt lgkmcnt(0)
	v_fma_f32 v11, v10, v11, 0
.LBB2_31:
	s_or_b64 exec, exec, s[0:1]
	s_waitcnt lgkmcnt(0)
	ds_bpermute_b32 v12, v3, v11
	v_cmp_eq_u32_e64 s[76:77], 3, v0
	s_waitcnt lgkmcnt(0)
	v_add_f32_e32 v11, v11, v12
	ds_bpermute_b32 v12, v4, v11
	s_waitcnt lgkmcnt(0)
	v_add_f32_e32 v11, v11, v12
	ds_bpermute_b32 v12, v5, v11
	s_waitcnt lgkmcnt(0)
	v_add_f32_e32 v11, v11, v12
	ds_bpermute_b32 v12, v6, v11
	s_waitcnt lgkmcnt(0)
	v_add_f32_e32 v11, v11, v12
	ds_bpermute_b32 v12, v7, v11
	s_and_saveexec_b64 s[0:1], s[76:77]
	s_cbranch_execz .LBB2_33
; %bb.32:
	v_mov_b32_e32 v13, 0
	ds_read_b32 v13, v13 offset:780
	s_waitcnt lgkmcnt(1)
	v_add_f32_e32 v11, v11, v12
	v_sub_f32_e32 v10, v10, v11
	s_waitcnt lgkmcnt(0)
	v_div_scale_f32 v11, s[2:3], v13, v13, v10
	v_rcp_f32_e32 v12, v11
	v_div_scale_f32 v14, vcc, v10, v13, v10
	v_fma_f32 v15, -v11, v12, 1.0
	v_fmac_f32_e32 v12, v15, v12
	v_mul_f32_e32 v15, v14, v12
	v_fma_f32 v16, -v11, v15, v14
	v_fmac_f32_e32 v15, v16, v12
	v_fma_f32 v11, -v11, v15, v14
	v_div_fmas_f32 v11, v11, v12, v15
	v_div_fixup_f32 v10, v11, v13, v10
.LBB2_33:
	s_or_b64 exec, exec, s[0:1]
	v_mov_b32_e32 v11, 0
	v_cmp_gt_u32_e64 s[2:3], 4, v0
	s_mov_b64 s[0:1], exec
	v_writelane_b32 v17, s2, 14
	v_writelane_b32 v17, s3, 15
	s_and_b64 s[2:3], s[0:1], s[2:3]
	s_mov_b64 exec, s[2:3]
	s_cbranch_execz .LBB2_35
; %bb.34:
	ds_read_b32 v11, v8 offset:1024
	s_waitcnt lgkmcnt(0)
	v_fma_f32 v11, v10, v11, 0
.LBB2_35:
	s_or_b64 exec, exec, s[0:1]
	s_waitcnt lgkmcnt(0)
	;; [unrolled: 51-line block ×14, first 2 shown]
	ds_bpermute_b32 v12, v3, v11
	v_cmp_eq_u32_e64 s[10:11], 16, v0
	s_waitcnt lgkmcnt(0)
	v_add_f32_e32 v11, v11, v12
	ds_bpermute_b32 v12, v4, v11
	s_waitcnt lgkmcnt(0)
	v_add_f32_e32 v11, v11, v12
	ds_bpermute_b32 v12, v5, v11
	s_waitcnt lgkmcnt(0)
	v_add_f32_e32 v11, v11, v12
	ds_bpermute_b32 v12, v6, v11
	s_waitcnt lgkmcnt(0)
	v_add_f32_e32 v11, v11, v12
	ds_bpermute_b32 v12, v7, v11
	s_and_saveexec_b64 s[12:13], s[10:11]
	s_cbranch_execz .LBB2_85
; %bb.84:
	v_mov_b32_e32 v13, 0
	ds_read_b32 v13, v13 offset:4160
	s_waitcnt lgkmcnt(1)
	v_add_f32_e32 v11, v11, v12
	v_sub_f32_e32 v10, v10, v11
	s_waitcnt lgkmcnt(0)
	v_div_scale_f32 v11, s[14:15], v13, v13, v10
	v_rcp_f32_e32 v12, v11
	v_div_scale_f32 v14, vcc, v10, v13, v10
	v_fma_f32 v15, -v11, v12, 1.0
	v_fmac_f32_e32 v12, v15, v12
	v_mul_f32_e32 v15, v14, v12
	v_fma_f32 v16, -v11, v15, v14
	v_fmac_f32_e32 v15, v16, v12
	v_fma_f32 v11, -v11, v15, v14
	v_div_fmas_f32 v11, v11, v12, v15
	v_div_fixup_f32 v10, v11, v13, v10
.LBB2_85:
	s_or_b64 exec, exec, s[12:13]
	v_cmp_gt_u32_e64 s[46:47], 17, v0
	v_mov_b32_e32 v11, 0
	s_and_saveexec_b64 s[12:13], s[46:47]
	s_cbranch_execz .LBB2_87
; %bb.86:
	ds_read_b32 v11, v8 offset:4352
	s_waitcnt lgkmcnt(0)
	v_fma_f32 v11, v10, v11, 0
.LBB2_87:
	s_or_b64 exec, exec, s[12:13]
	s_waitcnt lgkmcnt(0)
	ds_bpermute_b32 v12, v3, v11
	v_cmp_eq_u32_e64 s[12:13], 17, v0
	s_waitcnt lgkmcnt(0)
	v_add_f32_e32 v11, v11, v12
	ds_bpermute_b32 v12, v4, v11
	s_waitcnt lgkmcnt(0)
	v_add_f32_e32 v11, v11, v12
	ds_bpermute_b32 v12, v5, v11
	s_waitcnt lgkmcnt(0)
	v_add_f32_e32 v11, v11, v12
	ds_bpermute_b32 v12, v6, v11
	s_waitcnt lgkmcnt(0)
	v_add_f32_e32 v11, v11, v12
	ds_bpermute_b32 v12, v7, v11
	s_and_saveexec_b64 s[14:15], s[12:13]
	s_cbranch_execz .LBB2_89
; %bb.88:
	v_mov_b32_e32 v13, 0
	ds_read_b32 v13, v13 offset:4420
	s_waitcnt lgkmcnt(1)
	v_add_f32_e32 v11, v11, v12
	v_sub_f32_e32 v10, v10, v11
	s_waitcnt lgkmcnt(0)
	v_div_scale_f32 v11, s[16:17], v13, v13, v10
	v_rcp_f32_e32 v12, v11
	v_div_scale_f32 v14, vcc, v10, v13, v10
	v_fma_f32 v15, -v11, v12, 1.0
	v_fmac_f32_e32 v12, v15, v12
	v_mul_f32_e32 v15, v14, v12
	v_fma_f32 v16, -v11, v15, v14
	v_fmac_f32_e32 v15, v16, v12
	v_fma_f32 v11, -v11, v15, v14
	v_div_fmas_f32 v11, v11, v12, v15
	v_div_fixup_f32 v10, v11, v13, v10
.LBB2_89:
	s_or_b64 exec, exec, s[14:15]
	v_cmp_gt_u32_e64 s[48:49], 18, v0
	v_mov_b32_e32 v11, 0
	s_and_saveexec_b64 s[14:15], s[48:49]
	s_cbranch_execz .LBB2_91
; %bb.90:
	ds_read_b32 v11, v8 offset:4608
	s_waitcnt lgkmcnt(0)
	v_fma_f32 v11, v10, v11, 0
.LBB2_91:
	s_or_b64 exec, exec, s[14:15]
	s_waitcnt lgkmcnt(0)
	;; [unrolled: 47-line block ×14, first 2 shown]
	ds_bpermute_b32 v12, v3, v11
	v_cmp_eq_u32_e64 s[40:41], 30, v0
	s_waitcnt lgkmcnt(0)
	v_add_f32_e32 v11, v11, v12
	ds_bpermute_b32 v12, v4, v11
	s_waitcnt lgkmcnt(0)
	v_add_f32_e32 v11, v11, v12
	ds_bpermute_b32 v12, v5, v11
	;; [unrolled: 3-line block ×4, first 2 shown]
	s_and_saveexec_b64 s[42:43], s[40:41]
	s_cbranch_execz .LBB2_141
; %bb.140:
	v_mov_b32_e32 v13, 0
	ds_read_b32 v13, v13 offset:7800
	s_waitcnt lgkmcnt(1)
	v_add_f32_e32 v11, v11, v12
	v_sub_f32_e32 v10, v10, v11
	s_waitcnt lgkmcnt(0)
	v_div_scale_f32 v11, vcc, v13, v13, v10
	v_rcp_f32_e32 v12, v11
	v_div_scale_f32 v14, vcc, v10, v13, v10
	v_fma_f32 v15, -v11, v12, 1.0
	v_fmac_f32_e32 v12, v15, v12
	v_mul_f32_e32 v15, v14, v12
	v_fma_f32 v16, -v11, v15, v14
	v_fmac_f32_e32 v15, v16, v12
	v_fma_f32 v11, -v11, v15, v14
	v_div_fmas_f32 v11, v11, v12, v15
	v_div_fixup_f32 v10, v11, v13, v10
.LBB2_141:
	s_or_b64 exec, exec, s[42:43]
	v_mov_b32_e32 v11, 0
	v_cmp_gt_u32_e32 vcc, 31, v0
	s_mov_b64 s[42:43], exec
	v_writelane_b32 v17, vcc_lo, 40
	v_writelane_b32 v17, vcc_hi, 41
	s_and_b64 vcc, s[42:43], vcc
	s_mov_b64 exec, vcc
	s_cbranch_execz .LBB2_143
; %bb.142:
	ds_read_b32 v11, v8 offset:7936
	s_waitcnt lgkmcnt(0)
	v_fma_f32 v11, v10, v11, 0
.LBB2_143:
	s_or_b64 exec, exec, s[42:43]
	s_waitcnt lgkmcnt(0)
	ds_bpermute_b32 v12, v3, v11
	v_cmp_eq_u32_e32 vcc, 31, v0
	s_waitcnt lgkmcnt(0)
	v_add_f32_e32 v11, v11, v12
	ds_bpermute_b32 v12, v4, v11
	s_waitcnt lgkmcnt(0)
	v_add_f32_e32 v11, v11, v12
	ds_bpermute_b32 v12, v5, v11
	;; [unrolled: 3-line block ×4, first 2 shown]
	s_mov_b64 s[42:43], exec
	v_writelane_b32 v17, vcc_lo, 42
	v_writelane_b32 v17, vcc_hi, 43
	s_and_b64 vcc, s[42:43], vcc
	s_mov_b64 exec, vcc
	s_cbranch_execz .LBB2_145
; %bb.144:
	v_mov_b32_e32 v13, 0
	ds_read_b32 v13, v13 offset:8060
	s_waitcnt lgkmcnt(1)
	v_add_f32_e32 v11, v11, v12
	v_sub_f32_e32 v10, v10, v11
	s_waitcnt lgkmcnt(0)
	v_div_scale_f32 v11, vcc, v13, v13, v10
	v_rcp_f32_e32 v12, v11
	v_div_scale_f32 v14, vcc, v10, v13, v10
	v_fma_f32 v15, -v11, v12, 1.0
	v_fmac_f32_e32 v12, v15, v12
	v_mul_f32_e32 v15, v14, v12
	v_fma_f32 v16, -v11, v15, v14
	v_fmac_f32_e32 v15, v16, v12
	v_fma_f32 v11, -v11, v15, v14
	v_div_fmas_f32 v11, v11, v12, v15
	v_div_fixup_f32 v10, v11, v13, v10
.LBB2_145:
	s_or_b64 exec, exec, s[42:43]
	ds_read_b32 v11, v8 offset:8192
	s_waitcnt lgkmcnt(0)
	v_mul_f32_e32 v12, v10, v11
	ds_bpermute_b32 v12, v3, v12
	s_waitcnt lgkmcnt(0)
	v_fmac_f32_e32 v12, v10, v11
	ds_bpermute_b32 v11, v4, v12
	s_waitcnt lgkmcnt(0)
	v_add_f32_e32 v11, v12, v11
	ds_bpermute_b32 v12, v5, v11
	s_waitcnt lgkmcnt(0)
	v_add_f32_e32 v11, v11, v12
	;; [unrolled: 3-line block ×3, first 2 shown]
	ds_bpermute_b32 v12, v7, v11
	s_and_saveexec_b64 s[42:43], s[6:7]
	s_cbranch_execz .LBB2_147
; %bb.146:
	v_mov_b32_e32 v13, 0
	ds_read_b32 v13, v13 offset:8320
	s_waitcnt lgkmcnt(1)
	v_add_f32_e32 v11, v11, v12
	v_sub_f32_e32 v9, v9, v11
	s_waitcnt lgkmcnt(0)
	v_div_scale_f32 v11, vcc, v13, v13, v9
	v_rcp_f32_e32 v12, v11
	v_div_scale_f32 v14, vcc, v9, v13, v9
	v_fma_f32 v15, -v11, v12, 1.0
	v_fmac_f32_e32 v12, v15, v12
	v_mul_f32_e32 v15, v14, v12
	v_fma_f32 v16, -v11, v15, v14
	v_fmac_f32_e32 v15, v16, v12
	v_fma_f32 v11, -v11, v15, v14
	v_div_fmas_f32 v11, v11, v12, v15
	v_div_fixup_f32 v9, v11, v13, v9
.LBB2_147:
	s_or_b64 exec, exec, s[42:43]
	v_mov_b32_e32 v11, 0
	s_waitcnt lgkmcnt(0)
	ds_read_b32 v12, v8 offset:8448
	ds_read_b32 v13, v11 offset:8576
	s_waitcnt lgkmcnt(1)
	v_mul_f32_e32 v12, v10, v12
	s_waitcnt lgkmcnt(0)
	v_fma_f32 v13, v9, v13, v12
	v_cndmask_b32_e64 v12, v12, v13, s[6:7]
	ds_bpermute_b32 v13, v3, v12
	s_waitcnt lgkmcnt(0)
	v_add_f32_e32 v12, v12, v13
	ds_bpermute_b32 v13, v4, v12
	s_waitcnt lgkmcnt(0)
	v_add_f32_e32 v12, v12, v13
	;; [unrolled: 3-line block ×4, first 2 shown]
	ds_bpermute_b32 v13, v7, v12
	s_mov_b64 s[6:7], exec
	v_readlane_b32 s42, v17, 8
	v_readlane_b32 s43, v17, 9
	s_and_b64 s[42:43], s[6:7], s[42:43]
	s_mov_b64 exec, s[42:43]
	s_cbranch_execz .LBB2_149
; %bb.148:
	ds_read_b32 v11, v11 offset:8580
	s_waitcnt lgkmcnt(1)
	v_add_f32_e32 v12, v12, v13
	v_sub_f32_e32 v9, v9, v12
	s_waitcnt lgkmcnt(0)
	v_div_scale_f32 v12, s[42:43], v11, v11, v9
	v_rcp_f32_e32 v13, v12
	v_div_scale_f32 v14, vcc, v9, v11, v9
	v_fma_f32 v15, -v12, v13, 1.0
	v_fmac_f32_e32 v13, v15, v13
	v_mul_f32_e32 v15, v14, v13
	v_fma_f32 v16, -v12, v15, v14
	v_fmac_f32_e32 v15, v16, v13
	v_fma_f32 v12, -v12, v15, v14
	v_div_fmas_f32 v12, v12, v13, v15
	v_div_fixup_f32 v9, v12, v11, v9
.LBB2_149:
	s_or_b64 exec, exec, s[6:7]
	ds_read_b32 v11, v8 offset:8704
	s_waitcnt lgkmcnt(0)
	v_mul_f32_e32 v11, v10, v11
	s_mov_b64 s[6:7], exec
	v_readlane_b32 s42, v17, 10
	v_readlane_b32 s43, v17, 11
	s_and_b64 s[42:43], s[6:7], s[42:43]
	s_mov_b64 exec, s[42:43]
	s_cbranch_execz .LBB2_151
; %bb.150:
	ds_read_b32 v12, v8 offset:8832
	s_waitcnt lgkmcnt(0)
	v_fmac_f32_e32 v11, v9, v12
.LBB2_151:
	s_or_b64 exec, exec, s[6:7]
	ds_bpermute_b32 v12, v3, v11
	s_waitcnt lgkmcnt(0)
	v_add_f32_e32 v11, v11, v12
	ds_bpermute_b32 v12, v4, v11
	s_waitcnt lgkmcnt(0)
	v_add_f32_e32 v11, v11, v12
	ds_bpermute_b32 v12, v5, v11
	s_waitcnt lgkmcnt(0)
	v_add_f32_e32 v11, v11, v12
	ds_bpermute_b32 v12, v6, v11
	s_waitcnt lgkmcnt(0)
	v_add_f32_e32 v11, v11, v12
	ds_bpermute_b32 v12, v7, v11
	s_and_saveexec_b64 s[6:7], s[74:75]
	s_cbranch_execz .LBB2_153
; %bb.152:
	v_mov_b32_e32 v13, 0
	ds_read_b32 v13, v13 offset:8840
	s_waitcnt lgkmcnt(1)
	v_add_f32_e32 v11, v11, v12
	v_sub_f32_e32 v9, v9, v11
	s_waitcnt lgkmcnt(0)
	v_div_scale_f32 v11, s[42:43], v13, v13, v9
	v_rcp_f32_e32 v12, v11
	v_div_scale_f32 v14, vcc, v9, v13, v9
	v_fma_f32 v15, -v11, v12, 1.0
	v_fmac_f32_e32 v12, v15, v12
	v_mul_f32_e32 v15, v14, v12
	v_fma_f32 v16, -v11, v15, v14
	v_fmac_f32_e32 v15, v16, v12
	v_fma_f32 v11, -v11, v15, v14
	v_div_fmas_f32 v11, v11, v12, v15
	v_div_fixup_f32 v9, v11, v13, v9
.LBB2_153:
	s_or_b64 exec, exec, s[6:7]
	ds_read_b32 v11, v8 offset:8960
	s_waitcnt lgkmcnt(0)
	v_mul_f32_e32 v11, v10, v11
	s_mov_b64 s[6:7], exec
	v_readlane_b32 s42, v17, 12
	v_readlane_b32 s43, v17, 13
	s_and_b64 s[42:43], s[6:7], s[42:43]
	s_mov_b64 exec, s[42:43]
	s_cbranch_execz .LBB2_155
; %bb.154:
	ds_read_b32 v12, v8 offset:9088
	s_waitcnt lgkmcnt(0)
	v_fmac_f32_e32 v11, v9, v12
.LBB2_155:
	s_or_b64 exec, exec, s[6:7]
	ds_bpermute_b32 v12, v3, v11
	s_waitcnt lgkmcnt(0)
	v_add_f32_e32 v11, v11, v12
	ds_bpermute_b32 v12, v4, v11
	s_waitcnt lgkmcnt(0)
	v_add_f32_e32 v11, v11, v12
	ds_bpermute_b32 v12, v5, v11
	s_waitcnt lgkmcnt(0)
	v_add_f32_e32 v11, v11, v12
	ds_bpermute_b32 v12, v6, v11
	s_waitcnt lgkmcnt(0)
	v_add_f32_e32 v11, v11, v12
	ds_bpermute_b32 v12, v7, v11
	s_and_saveexec_b64 s[6:7], s[76:77]
	s_cbranch_execz .LBB2_157
; %bb.156:
	v_mov_b32_e32 v13, 0
	ds_read_b32 v13, v13 offset:9100
	s_waitcnt lgkmcnt(1)
	v_add_f32_e32 v11, v11, v12
	v_sub_f32_e32 v9, v9, v11
	s_waitcnt lgkmcnt(0)
	v_div_scale_f32 v11, s[42:43], v13, v13, v9
	v_rcp_f32_e32 v12, v11
	v_div_scale_f32 v14, vcc, v9, v13, v9
	v_fma_f32 v15, -v11, v12, 1.0
	v_fmac_f32_e32 v12, v15, v12
	v_mul_f32_e32 v15, v14, v12
	v_fma_f32 v16, -v11, v15, v14
	v_fmac_f32_e32 v15, v16, v12
	v_fma_f32 v11, -v11, v15, v14
	v_div_fmas_f32 v11, v11, v12, v15
	v_div_fixup_f32 v9, v11, v13, v9
.LBB2_157:
	;; [unrolled: 50-line block ×15, first 2 shown]
	s_or_b64 exec, exec, s[0:1]
	ds_read_b32 v11, v8 offset:12544
	s_waitcnt lgkmcnt(0)
	v_mul_f32_e32 v11, v10, v11
	s_and_saveexec_b64 s[0:1], s[46:47]
	s_cbranch_execz .LBB2_211
; %bb.210:
	ds_read_b32 v12, v8 offset:12672
	s_waitcnt lgkmcnt(0)
	v_fmac_f32_e32 v11, v9, v12
.LBB2_211:
	s_or_b64 exec, exec, s[0:1]
	ds_bpermute_b32 v12, v3, v11
	s_waitcnt lgkmcnt(0)
	v_add_f32_e32 v11, v11, v12
	ds_bpermute_b32 v12, v4, v11
	s_waitcnt lgkmcnt(0)
	v_add_f32_e32 v11, v11, v12
	ds_bpermute_b32 v12, v5, v11
	s_waitcnt lgkmcnt(0)
	v_add_f32_e32 v11, v11, v12
	ds_bpermute_b32 v12, v6, v11
	s_waitcnt lgkmcnt(0)
	v_add_f32_e32 v11, v11, v12
	ds_bpermute_b32 v12, v7, v11
	s_and_saveexec_b64 s[0:1], s[12:13]
	s_cbranch_execz .LBB2_213
; %bb.212:
	v_mov_b32_e32 v13, 0
	ds_read_b32 v13, v13 offset:12740
	s_waitcnt lgkmcnt(1)
	v_add_f32_e32 v11, v11, v12
	v_sub_f32_e32 v9, v9, v11
	s_waitcnt lgkmcnt(0)
	v_div_scale_f32 v11, s[2:3], v13, v13, v9
	v_rcp_f32_e32 v12, v11
	v_div_scale_f32 v14, vcc, v9, v13, v9
	v_fma_f32 v15, -v11, v12, 1.0
	v_fmac_f32_e32 v12, v15, v12
	v_mul_f32_e32 v15, v14, v12
	v_fma_f32 v16, -v11, v15, v14
	v_fmac_f32_e32 v15, v16, v12
	v_fma_f32 v11, -v11, v15, v14
	v_div_fmas_f32 v11, v11, v12, v15
	v_div_fixup_f32 v9, v11, v13, v9
.LBB2_213:
	s_or_b64 exec, exec, s[0:1]
	ds_read_b32 v11, v8 offset:12800
	s_waitcnt lgkmcnt(0)
	v_mul_f32_e32 v11, v10, v11
	s_and_saveexec_b64 s[0:1], s[48:49]
	s_cbranch_execz .LBB2_215
; %bb.214:
	ds_read_b32 v12, v8 offset:12928
	s_waitcnt lgkmcnt(0)
	v_fmac_f32_e32 v11, v9, v12
.LBB2_215:
	s_or_b64 exec, exec, s[0:1]
	ds_bpermute_b32 v12, v3, v11
	s_waitcnt lgkmcnt(0)
	v_add_f32_e32 v11, v11, v12
	ds_bpermute_b32 v12, v4, v11
	s_waitcnt lgkmcnt(0)
	v_add_f32_e32 v11, v11, v12
	ds_bpermute_b32 v12, v5, v11
	s_waitcnt lgkmcnt(0)
	v_add_f32_e32 v11, v11, v12
	ds_bpermute_b32 v12, v6, v11
	s_waitcnt lgkmcnt(0)
	v_add_f32_e32 v11, v11, v12
	ds_bpermute_b32 v12, v7, v11
	s_and_saveexec_b64 s[0:1], s[14:15]
	s_cbranch_execz .LBB2_217
; %bb.216:
	v_mov_b32_e32 v13, 0
	ds_read_b32 v13, v13 offset:13000
	s_waitcnt lgkmcnt(1)
	v_add_f32_e32 v11, v11, v12
	v_sub_f32_e32 v9, v9, v11
	s_waitcnt lgkmcnt(0)
	v_div_scale_f32 v11, s[2:3], v13, v13, v9
	v_rcp_f32_e32 v12, v11
	v_div_scale_f32 v14, vcc, v9, v13, v9
	v_fma_f32 v15, -v11, v12, 1.0
	v_fmac_f32_e32 v12, v15, v12
	v_mul_f32_e32 v15, v14, v12
	v_fma_f32 v16, -v11, v15, v14
	v_fmac_f32_e32 v15, v16, v12
	v_fma_f32 v11, -v11, v15, v14
	v_div_fmas_f32 v11, v11, v12, v15
	v_div_fixup_f32 v9, v11, v13, v9
.LBB2_217:
	;; [unrolled: 46-line block ×14, first 2 shown]
	s_or_b64 exec, exec, s[0:1]
	ds_read_b32 v11, v8 offset:16128
	s_load_dwordx2 s[0:1], s[4:5], 0x10
	s_waitcnt lgkmcnt(0)
	v_mul_f32_e32 v11, v10, v11
	s_mov_b64 s[2:3], exec
	v_readlane_b32 s4, v17, 40
	v_readlane_b32 s5, v17, 41
	s_and_b64 s[4:5], s[2:3], s[4:5]
	s_mov_b64 exec, s[4:5]
	s_cbranch_execz .LBB2_267
; %bb.266:
	ds_read_b32 v8, v8 offset:16256
	s_waitcnt lgkmcnt(0)
	v_fmac_f32_e32 v11, v9, v8
.LBB2_267:
	s_or_b64 exec, exec, s[2:3]
	ds_bpermute_b32 v3, v3, v11
	s_waitcnt lgkmcnt(0)
	v_add_f32_e32 v3, v11, v3
	ds_bpermute_b32 v4, v4, v3
	s_waitcnt lgkmcnt(0)
	v_add_f32_e32 v3, v3, v4
	;; [unrolled: 3-line block ×4, first 2 shown]
	ds_bpermute_b32 v4, v7, v3
	s_mov_b64 s[2:3], exec
	v_readlane_b32 s4, v17, 42
	v_readlane_b32 s5, v17, 43
	s_and_b64 s[4:5], s[2:3], s[4:5]
	s_mov_b64 exec, s[4:5]
	s_cbranch_execz .LBB2_269
; %bb.268:
	v_mov_b32_e32 v5, 0
	ds_read_b32 v5, v5 offset:16380
	s_waitcnt lgkmcnt(1)
	v_add_f32_e32 v3, v3, v4
	v_sub_f32_e32 v3, v9, v3
	s_waitcnt lgkmcnt(0)
	v_div_scale_f32 v4, s[4:5], v5, v5, v3
	v_rcp_f32_e32 v6, v4
	v_div_scale_f32 v7, vcc, v3, v5, v3
	v_fma_f32 v8, -v4, v6, 1.0
	v_fmac_f32_e32 v6, v8, v6
	v_mul_f32_e32 v8, v7, v6
	v_fma_f32 v9, -v4, v8, v7
	v_fmac_f32_e32 v8, v9, v6
	v_fma_f32 v4, -v4, v8, v7
	v_div_fmas_f32 v4, v4, v6, v8
	v_div_fixup_f32 v9, v4, v5, v3
.LBB2_269:
	s_or_b64 exec, exec, s[2:3]
	v_readlane_b32 s4, v17, 0
	v_readlane_b32 s5, v17, 1
	;; [unrolled: 1-line block ×4, first 2 shown]
	s_mul_i32 s2, s44, s5
	s_mul_hi_u32 s3, s44, s4
	s_add_i32 s3, s3, s2
	s_mul_i32 s2, s44, s4
	s_mul_i32 s4, s33, s7
	s_mul_hi_u32 s5, s33, s6
	s_add_i32 s5, s5, s4
	s_lshl_b64 s[2:3], s[2:3], 2
	s_mul_i32 s4, s33, s6
	s_add_u32 s2, s0, s2
	s_addc_u32 s3, s1, s3
	s_lshl_b64 s[0:1], s[4:5], 2
	s_add_u32 s0, s2, s0
	s_addc_u32 s1, s3, s1
	s_mov_b64 s[2:3], exec
	v_readlane_b32 s4, v17, 4
	v_readlane_b32 s5, v17, 5
	s_and_b64 s[4:5], s[2:3], s[4:5]
	s_mov_b64 exec, s[4:5]
	s_cbranch_execz .LBB2_271
; %bb.270:
	v_readlane_b32 s4, v17, 6
	v_readlane_b32 s5, v17, 7
	v_lshl_or_b32 v0, v0, 6, v1
	v_cndmask_b32_e64 v3, v9, v10, s[4:5]
	global_store_dword v0, v3, s[0:1]
.LBB2_271:
	s_or_b64 exec, exec, s[2:3]
	v_readlane_b32 s2, v17, 6
	v_readlane_b32 s3, v17, 7
	s_and_b64 exec, exec, s[2:3]
	s_cbranch_execz .LBB2_273
; %bb.272:
	v_lshl_or_b32 v0, v2, 6, v1
	global_store_dword v0, v9, s[0:1]
.LBB2_273:
	s_endpgm
	.section	.rodata,"a",@progbits
	.p2align	6, 0x0
	.amdhsa_kernel _ZL18solve_tri_f32_fastILi64ELi16EEvPKfS1_Pf15HIP_vector_typeIjLj3EEmmmmmmii
		.amdhsa_group_segment_fixed_size 16384
		.amdhsa_private_segment_fixed_size 0
		.amdhsa_kernarg_size 352
		.amdhsa_user_sgpr_count 6
		.amdhsa_user_sgpr_private_segment_buffer 1
		.amdhsa_user_sgpr_dispatch_ptr 0
		.amdhsa_user_sgpr_queue_ptr 0
		.amdhsa_user_sgpr_kernarg_segment_ptr 1
		.amdhsa_user_sgpr_dispatch_id 0
		.amdhsa_user_sgpr_flat_scratch_init 0
		.amdhsa_user_sgpr_kernarg_preload_length 0
		.amdhsa_user_sgpr_kernarg_preload_offset 0
		.amdhsa_user_sgpr_private_segment_size 0
		.amdhsa_uses_dynamic_stack 0
		.amdhsa_system_sgpr_private_segment_wavefront_offset 0
		.amdhsa_system_sgpr_workgroup_id_x 1
		.amdhsa_system_sgpr_workgroup_id_y 0
		.amdhsa_system_sgpr_workgroup_id_z 0
		.amdhsa_system_sgpr_workgroup_info 0
		.amdhsa_system_vgpr_workitem_id 1
		.amdhsa_next_free_vgpr 18
		.amdhsa_next_free_sgpr 96
		.amdhsa_accum_offset 20
		.amdhsa_reserve_vcc 1
		.amdhsa_reserve_flat_scratch 0
		.amdhsa_float_round_mode_32 0
		.amdhsa_float_round_mode_16_64 0
		.amdhsa_float_denorm_mode_32 3
		.amdhsa_float_denorm_mode_16_64 3
		.amdhsa_dx10_clamp 1
		.amdhsa_ieee_mode 1
		.amdhsa_fp16_overflow 0
		.amdhsa_tg_split 0
		.amdhsa_exception_fp_ieee_invalid_op 0
		.amdhsa_exception_fp_denorm_src 0
		.amdhsa_exception_fp_ieee_div_zero 0
		.amdhsa_exception_fp_ieee_overflow 0
		.amdhsa_exception_fp_ieee_underflow 0
		.amdhsa_exception_fp_ieee_inexact 0
		.amdhsa_exception_int_div_zero 0
	.end_amdhsa_kernel
	.section	.text._ZL18solve_tri_f32_fastILi64ELi16EEvPKfS1_Pf15HIP_vector_typeIjLj3EEmmmmmmii,"axG",@progbits,_ZL18solve_tri_f32_fastILi64ELi16EEvPKfS1_Pf15HIP_vector_typeIjLj3EEmmmmmmii,comdat
.Lfunc_end2:
	.size	_ZL18solve_tri_f32_fastILi64ELi16EEvPKfS1_Pf15HIP_vector_typeIjLj3EEmmmmmmii, .Lfunc_end2-_ZL18solve_tri_f32_fastILi64ELi16EEvPKfS1_Pf15HIP_vector_typeIjLj3EEmmmmmmii
                                        ; -- End function
	.section	.AMDGPU.csdata,"",@progbits
; Kernel info:
; codeLenInByte = 16856
; NumSgprs: 100
; NumVgprs: 18
; NumAgprs: 0
; TotalNumVgprs: 18
; ScratchSize: 0
; MemoryBound: 0
; FloatMode: 240
; IeeeMode: 1
; LDSByteSize: 16384 bytes/workgroup (compile time only)
; SGPRBlocks: 12
; VGPRBlocks: 2
; NumSGPRsForWavesPerEU: 100
; NumVGPRsForWavesPerEU: 18
; AccumOffset: 20
; Occupancy: 8
; WaveLimiterHint : 0
; COMPUTE_PGM_RSRC2:SCRATCH_EN: 0
; COMPUTE_PGM_RSRC2:USER_SGPR: 6
; COMPUTE_PGM_RSRC2:TRAP_HANDLER: 0
; COMPUTE_PGM_RSRC2:TGID_X_EN: 1
; COMPUTE_PGM_RSRC2:TGID_Y_EN: 0
; COMPUTE_PGM_RSRC2:TGID_Z_EN: 0
; COMPUTE_PGM_RSRC2:TIDIG_COMP_CNT: 1
; COMPUTE_PGM_RSRC3_GFX90A:ACCUM_OFFSET: 4
; COMPUTE_PGM_RSRC3_GFX90A:TG_SPLIT: 0
	.section	.text._ZL18solve_tri_f32_fastILi64ELi14EEvPKfS1_Pf15HIP_vector_typeIjLj3EEmmmmmmii,"axG",@progbits,_ZL18solve_tri_f32_fastILi64ELi14EEvPKfS1_Pf15HIP_vector_typeIjLj3EEmmmmmmii,comdat
	.globl	_ZL18solve_tri_f32_fastILi64ELi14EEvPKfS1_Pf15HIP_vector_typeIjLj3EEmmmmmmii ; -- Begin function _ZL18solve_tri_f32_fastILi64ELi14EEvPKfS1_Pf15HIP_vector_typeIjLj3EEmmmmmmii
	.p2align	8
	.type	_ZL18solve_tri_f32_fastILi64ELi14EEvPKfS1_Pf15HIP_vector_typeIjLj3EEmmmmmmii,@function
_ZL18solve_tri_f32_fastILi64ELi14EEvPKfS1_Pf15HIP_vector_typeIjLj3EEmmmmmmii: ; @_ZL18solve_tri_f32_fastILi64ELi14EEvPKfS1_Pf15HIP_vector_typeIjLj3EEmmmmmmii
; %bb.0:
	v_bfe_u32 v1, v0, 10, 10
	v_cmp_gt_u32_e32 vcc, 14, v1
	s_and_saveexec_b64 s[0:1], vcc
	s_cbranch_execz .LBB3_277
; %bb.1:
	s_load_dwordx4 s[0:3], s[4:5], 0x18
	s_load_dwordx2 s[16:17], s[4:5], 0x0
	s_load_dwordx8 s[8:15], s[4:5], 0x28
	v_and_b32_e32 v11, 0x3ff, v0
	s_waitcnt lgkmcnt(0)
	s_mul_hi_u32 s0, s0, s6
	s_add_i32 s0, s6, s0
	s_lshr_b32 s33, s0, s1
	s_mul_i32 s0, s33, s2
	s_sub_i32 s44, s6, s0
	s_mul_i32 s0, s44, s9
	s_mul_hi_u32 s1, s44, s8
	s_add_i32 s1, s1, s0
	s_mul_i32 s0, s44, s8
	s_lshl_b64 s[0:1], s[0:1], 2
	s_add_u32 s2, s16, s0
	s_load_dword s6, s[4:5], 0x6c
	s_addc_u32 s3, s17, s1
	s_mul_i32 s0, s33, s11
	s_mul_hi_u32 s1, s33, s10
	s_add_i32 s1, s1, s0
	s_mul_i32 s0, s33, s10
	s_lshl_b64 s[0:1], s[0:1], 2
	s_add_u32 s0, s2, s0
	s_addc_u32 s1, s3, s1
	s_waitcnt lgkmcnt(0)
	s_and_b32 s2, s6, 0xffff
	v_mad_u32_u24 v2, v1, s2, v11
	s_movk_i32 s2, 0x1000
	v_cmp_gt_u32_e32 vcc, s2, v2
	v_lshlrev_b32_e32 v0, 2, v2
	s_and_saveexec_b64 s[2:3], vcc
	s_cbranch_execz .LBB3_3
; %bb.2:
	global_load_dword v3, v0, s[0:1]
	s_waitcnt vmcnt(0)
	ds_write_b32 v0, v3
.LBB3_3:
	s_or_b64 exec, exec, s[2:3]
	s_movk_i32 s2, 0xe40
	v_cmp_gt_u32_e32 vcc, s2, v2
	s_and_saveexec_b64 s[2:3], vcc
	s_cbranch_execz .LBB3_5
; %bb.4:
	global_load_dword v3, v0, s[0:1] offset:1792
	s_waitcnt vmcnt(0)
	ds_write_b32 v0, v3 offset:1792
.LBB3_5:
	s_or_b64 exec, exec, s[2:3]
	s_movk_i32 s2, 0xc80
	v_cmp_gt_u32_e32 vcc, s2, v2
	s_and_saveexec_b64 s[2:3], vcc
	s_cbranch_execz .LBB3_7
; %bb.6:
	global_load_dword v3, v0, s[0:1] offset:3584
	s_waitcnt vmcnt(0)
	ds_write_b32 v0, v3 offset:3584
.LBB3_7:
	s_or_b64 exec, exec, s[2:3]
	s_movk_i32 s2, 0xac0
	v_cmp_gt_u32_e32 vcc, s2, v2
	s_and_saveexec_b64 s[2:3], vcc
	s_cbranch_execz .LBB3_9
; %bb.8:
	v_add_u32_e32 v3, 0x1500, v0
	global_load_dword v3, v3, s[0:1]
	s_waitcnt vmcnt(0)
	ds_write_b32 v0, v3 offset:5376
.LBB3_9:
	s_or_b64 exec, exec, s[2:3]
	s_movk_i32 s2, 0x900
	v_cmp_gt_u32_e32 vcc, s2, v2
	s_and_saveexec_b64 s[2:3], vcc
	s_cbranch_execz .LBB3_11
; %bb.10:
	v_add_u32_e32 v3, 0x1c00, v0
	global_load_dword v3, v3, s[0:1]
	s_waitcnt vmcnt(0)
	ds_write_b32 v0, v3 offset:7168
.LBB3_11:
	;; [unrolled: 11-line block ×4, first 2 shown]
	s_or_b64 exec, exec, s[2:3]
	s_load_dwordx4 s[8:11], s[4:5], 0x48
                                        ; implicit-def: $vgpr18 : SGPR spill to VGPR lane
	s_movk_i32 s2, 0x3c0
	v_cmp_gt_u32_e32 vcc, s2, v2
	s_waitcnt lgkmcnt(0)
	v_writelane_b32 v18, s8, 0
	v_writelane_b32 v18, s9, 1
	;; [unrolled: 1-line block ×4, first 2 shown]
	s_and_saveexec_b64 s[2:3], vcc
	s_cbranch_execz .LBB3_17
; %bb.16:
	v_add_u32_e32 v3, 0x3100, v0
	global_load_dword v3, v3, s[0:1]
	s_waitcnt vmcnt(0)
	ds_write_b32 v0, v3 offset:12544
.LBB3_17:
	s_or_b64 exec, exec, s[2:3]
	s_load_dwordx2 s[2:3], s[4:5], 0x8
	s_movk_i32 s6, 0x200
	v_cmp_gt_u32_e32 vcc, s6, v2
	s_and_saveexec_b64 s[6:7], vcc
	s_cbranch_execz .LBB3_19
; %bb.18:
	v_or_b32_e32 v3, 0x3800, v0
	global_load_dword v3, v3, s[0:1]
	s_waitcnt vmcnt(0)
	ds_write_b32 v0, v3 offset:14336
.LBB3_19:
	s_or_b64 exec, exec, s[6:7]
	v_cmp_gt_u32_e32 vcc, 64, v2
	s_and_saveexec_b64 s[6:7], vcc
	s_cbranch_execz .LBB3_21
; %bb.20:
	v_or_b32_e32 v2, 0x3f00, v0
	global_load_dword v2, v2, s[0:1]
	s_waitcnt vmcnt(0)
	ds_write_b32 v0, v2 offset:16128
.LBB3_21:
	s_or_b64 exec, exec, s[6:7]
	s_mul_i32 s0, s44, s13
	s_mul_hi_u32 s1, s44, s12
	s_add_i32 s1, s1, s0
	s_mul_i32 s0, s44, s12
	s_mul_i32 s6, s33, s15
	s_mul_hi_u32 s7, s33, s14
	s_add_i32 s7, s7, s6
	s_lshl_b64 s[0:1], s[0:1], 2
	s_mul_i32 s6, s33, s14
	s_waitcnt lgkmcnt(0)
	s_add_u32 s2, s2, s0
	s_addc_u32 s3, s3, s1
	s_lshl_b64 s[0:1], s[6:7], 2
	s_add_u32 s0, s2, s0
	s_addc_u32 s1, s3, s1
	v_mov_b32_e32 v9, 0
	v_mul_u32_u24_e32 v0, 14, v11
	v_mov_b32_e32 v10, 0
	s_barrier
	v_cmp_gt_u32_e64 s[6:7], 64, v11
	s_mov_b64 s[2:3], exec
	v_writelane_b32 v18, s6, 4
	v_writelane_b32 v18, s7, 5
	s_and_b64 s[6:7], s[2:3], s[6:7]
	s_mov_b64 exec, s[6:7]
	s_cbranch_execz .LBB3_23
; %bb.22:
	v_add_lshl_u32 v2, v0, v1, 2
	global_load_dword v10, v2, s[0:1]
.LBB3_23:
	s_or_b64 exec, exec, s[2:3]
	v_add_u32_e32 v2, 32, v11
	v_mul_u32_u24_e32 v2, 14, v2
	v_cmp_gt_u32_e64 s[6:7], 32, v11
	s_mov_b64 s[2:3], exec
	v_writelane_b32 v18, s6, 6
	v_writelane_b32 v18, s7, 7
	s_and_b64 s[6:7], s[2:3], s[6:7]
	s_mov_b64 exec, s[6:7]
	s_cbranch_execz .LBB3_25
; %bb.24:
	v_add_lshl_u32 v3, v2, v1, 2
	global_load_dword v9, v3, s[0:1]
.LBB3_25:
	s_or_b64 exec, exec, s[2:3]
	v_mbcnt_lo_u32_b32 v3, -1, 0
	v_mbcnt_hi_u32_b32 v7, -1, v3
	v_and_b32_e32 v3, 0x60, v7
	v_add_u32_e32 v12, 32, v3
	v_xor_b32_e32 v3, 16, v7
	v_cmp_lt_i32_e32 vcc, v3, v12
	v_cndmask_b32_e32 v3, v7, v3, vcc
	v_mov_b32_e32 v8, 0
	v_lshlrev_b32_e32 v3, 2, v3
	ds_bpermute_b32 v5, v3, v8
	v_xor_b32_e32 v4, 8, v7
	v_cmp_lt_i32_e32 vcc, v4, v12
	v_cndmask_b32_e32 v4, v7, v4, vcc
	v_lshlrev_b32_e32 v4, 2, v4
	s_waitcnt lgkmcnt(0)
	v_add_f32_e32 v6, 0, v5
	ds_bpermute_b32 v13, v4, v6
	v_xor_b32_e32 v5, 4, v7
	v_cmp_lt_i32_e32 vcc, v5, v12
	v_cndmask_b32_e32 v5, v7, v5, vcc
	v_lshlrev_b32_e32 v5, 2, v5
	s_waitcnt lgkmcnt(0)
	v_add_f32_e32 v13, v6, v13
	;; [unrolled: 7-line block ×4, first 2 shown]
	ds_bpermute_b32 v13, v7, v12
	v_cmp_eq_u32_e64 s[6:7], 0, v11
	s_and_saveexec_b64 s[0:1], s[6:7]
	s_cbranch_execz .LBB3_27
; %bb.26:
	ds_read_b32 v14, v8
	s_waitcnt lgkmcnt(1)
	v_add_f32_e32 v12, v12, v13
	s_waitcnt vmcnt(0)
	v_sub_f32_e32 v10, v10, v12
	s_waitcnt lgkmcnt(0)
	v_div_scale_f32 v12, s[2:3], v14, v14, v10
	v_rcp_f32_e32 v13, v12
	v_div_scale_f32 v15, vcc, v10, v14, v10
	v_fma_f32 v16, -v12, v13, 1.0
	v_fmac_f32_e32 v13, v16, v13
	v_mul_f32_e32 v16, v15, v13
	v_fma_f32 v17, -v12, v16, v15
	v_fmac_f32_e32 v16, v17, v13
	v_fma_f32 v12, -v12, v16, v15
	v_div_fmas_f32 v12, v12, v13, v16
	v_div_fixup_f32 v10, v12, v14, v10
.LBB3_27:
	s_or_b64 exec, exec, s[0:1]
	ds_read_b32 v8, v8 offset:256
	v_cmp_eq_u32_e64 s[2:3], 1, v11
	s_waitcnt vmcnt(0) lgkmcnt(0)
	v_fma_f32 v8, v10, v8, 0
	v_cndmask_b32_e64 v8, 0, v8, s[6:7]
	ds_bpermute_b32 v12, v3, v8
	s_waitcnt lgkmcnt(0)
	v_add_f32_e32 v8, v8, v12
	ds_bpermute_b32 v12, v4, v8
	s_waitcnt lgkmcnt(0)
	v_add_f32_e32 v8, v8, v12
	;; [unrolled: 3-line block ×4, first 2 shown]
	ds_bpermute_b32 v12, v7, v8
	s_mov_b64 s[0:1], exec
	v_writelane_b32 v18, s2, 8
	v_writelane_b32 v18, s3, 9
	s_and_b64 s[2:3], s[0:1], s[2:3]
	s_mov_b64 exec, s[2:3]
	s_cbranch_execz .LBB3_29
; %bb.28:
	v_mov_b32_e32 v13, 0
	ds_read_b32 v13, v13 offset:260
	s_waitcnt lgkmcnt(1)
	v_add_f32_e32 v8, v8, v12
	v_sub_f32_e32 v8, v10, v8
	s_waitcnt lgkmcnt(0)
	v_div_scale_f32 v10, s[2:3], v13, v13, v8
	v_rcp_f32_e32 v12, v10
	v_div_scale_f32 v14, vcc, v8, v13, v8
	v_fma_f32 v15, -v10, v12, 1.0
	v_fmac_f32_e32 v12, v15, v12
	v_mul_f32_e32 v15, v14, v12
	v_fma_f32 v16, -v10, v15, v14
	v_fmac_f32_e32 v15, v16, v12
	v_fma_f32 v10, -v10, v15, v14
	v_div_fmas_f32 v10, v10, v12, v15
	v_div_fixup_f32 v10, v10, v13, v8
.LBB3_29:
	s_or_b64 exec, exec, s[0:1]
	s_waitcnt lgkmcnt(0)
	v_mov_b32_e32 v12, 0
	v_lshlrev_b32_e32 v8, 2, v11
	v_cmp_gt_u32_e64 s[2:3], 2, v11
	s_mov_b64 s[0:1], exec
	v_writelane_b32 v18, s2, 10
	v_writelane_b32 v18, s3, 11
	s_and_b64 s[2:3], s[0:1], s[2:3]
	s_mov_b64 exec, s[2:3]
	s_cbranch_execz .LBB3_31
; %bb.30:
	ds_read_b32 v12, v8 offset:512
	s_waitcnt lgkmcnt(0)
	v_fma_f32 v12, v10, v12, 0
.LBB3_31:
	s_or_b64 exec, exec, s[0:1]
	ds_bpermute_b32 v13, v3, v12
	v_cmp_eq_u32_e64 s[74:75], 2, v11
	s_waitcnt lgkmcnt(0)
	v_add_f32_e32 v12, v12, v13
	ds_bpermute_b32 v13, v4, v12
	s_waitcnt lgkmcnt(0)
	v_add_f32_e32 v12, v12, v13
	ds_bpermute_b32 v13, v5, v12
	s_waitcnt lgkmcnt(0)
	v_add_f32_e32 v12, v12, v13
	ds_bpermute_b32 v13, v6, v12
	s_waitcnt lgkmcnt(0)
	v_add_f32_e32 v12, v12, v13
	ds_bpermute_b32 v13, v7, v12
	s_and_saveexec_b64 s[0:1], s[74:75]
	s_cbranch_execz .LBB3_33
; %bb.32:
	v_mov_b32_e32 v14, 0
	ds_read_b32 v14, v14 offset:520
	s_waitcnt lgkmcnt(1)
	v_add_f32_e32 v12, v12, v13
	v_sub_f32_e32 v10, v10, v12
	s_waitcnt lgkmcnt(0)
	v_div_scale_f32 v12, s[2:3], v14, v14, v10
	v_rcp_f32_e32 v13, v12
	v_div_scale_f32 v15, vcc, v10, v14, v10
	v_fma_f32 v16, -v12, v13, 1.0
	v_fmac_f32_e32 v13, v16, v13
	v_mul_f32_e32 v16, v15, v13
	v_fma_f32 v17, -v12, v16, v15
	v_fmac_f32_e32 v16, v17, v13
	v_fma_f32 v12, -v12, v16, v15
	v_div_fmas_f32 v12, v12, v13, v16
	v_div_fixup_f32 v10, v12, v14, v10
.LBB3_33:
	s_or_b64 exec, exec, s[0:1]
	v_mov_b32_e32 v12, 0
	v_cmp_gt_u32_e64 s[2:3], 3, v11
	s_mov_b64 s[0:1], exec
	v_writelane_b32 v18, s2, 12
	v_writelane_b32 v18, s3, 13
	s_and_b64 s[2:3], s[0:1], s[2:3]
	s_mov_b64 exec, s[2:3]
	s_cbranch_execz .LBB3_35
; %bb.34:
	ds_read_b32 v12, v8 offset:768
	s_waitcnt lgkmcnt(0)
	v_fma_f32 v12, v10, v12, 0
.LBB3_35:
	s_or_b64 exec, exec, s[0:1]
	s_waitcnt lgkmcnt(0)
	ds_bpermute_b32 v13, v3, v12
	v_cmp_eq_u32_e64 s[76:77], 3, v11
	s_waitcnt lgkmcnt(0)
	v_add_f32_e32 v12, v12, v13
	ds_bpermute_b32 v13, v4, v12
	s_waitcnt lgkmcnt(0)
	v_add_f32_e32 v12, v12, v13
	ds_bpermute_b32 v13, v5, v12
	s_waitcnt lgkmcnt(0)
	v_add_f32_e32 v12, v12, v13
	ds_bpermute_b32 v13, v6, v12
	s_waitcnt lgkmcnt(0)
	v_add_f32_e32 v12, v12, v13
	ds_bpermute_b32 v13, v7, v12
	s_and_saveexec_b64 s[0:1], s[76:77]
	s_cbranch_execz .LBB3_37
; %bb.36:
	v_mov_b32_e32 v14, 0
	ds_read_b32 v14, v14 offset:780
	s_waitcnt lgkmcnt(1)
	v_add_f32_e32 v12, v12, v13
	v_sub_f32_e32 v10, v10, v12
	s_waitcnt lgkmcnt(0)
	v_div_scale_f32 v12, s[2:3], v14, v14, v10
	v_rcp_f32_e32 v13, v12
	v_div_scale_f32 v15, vcc, v10, v14, v10
	v_fma_f32 v16, -v12, v13, 1.0
	v_fmac_f32_e32 v13, v16, v13
	v_mul_f32_e32 v16, v15, v13
	v_fma_f32 v17, -v12, v16, v15
	v_fmac_f32_e32 v16, v17, v13
	v_fma_f32 v12, -v12, v16, v15
	v_div_fmas_f32 v12, v12, v13, v16
	v_div_fixup_f32 v10, v12, v14, v10
.LBB3_37:
	s_or_b64 exec, exec, s[0:1]
	v_mov_b32_e32 v12, 0
	v_cmp_gt_u32_e64 s[2:3], 4, v11
	s_mov_b64 s[0:1], exec
	v_writelane_b32 v18, s2, 14
	v_writelane_b32 v18, s3, 15
	s_and_b64 s[2:3], s[0:1], s[2:3]
	s_mov_b64 exec, s[2:3]
	s_cbranch_execz .LBB3_39
; %bb.38:
	ds_read_b32 v12, v8 offset:1024
	s_waitcnt lgkmcnt(0)
	v_fma_f32 v12, v10, v12, 0
.LBB3_39:
	s_or_b64 exec, exec, s[0:1]
	s_waitcnt lgkmcnt(0)
	;; [unrolled: 51-line block ×14, first 2 shown]
	ds_bpermute_b32 v13, v3, v12
	v_cmp_eq_u32_e64 s[10:11], 16, v11
	s_waitcnt lgkmcnt(0)
	v_add_f32_e32 v12, v12, v13
	ds_bpermute_b32 v13, v4, v12
	s_waitcnt lgkmcnt(0)
	v_add_f32_e32 v12, v12, v13
	ds_bpermute_b32 v13, v5, v12
	s_waitcnt lgkmcnt(0)
	v_add_f32_e32 v12, v12, v13
	ds_bpermute_b32 v13, v6, v12
	s_waitcnt lgkmcnt(0)
	v_add_f32_e32 v12, v12, v13
	ds_bpermute_b32 v13, v7, v12
	s_and_saveexec_b64 s[12:13], s[10:11]
	s_cbranch_execz .LBB3_89
; %bb.88:
	v_mov_b32_e32 v14, 0
	ds_read_b32 v14, v14 offset:4160
	s_waitcnt lgkmcnt(1)
	v_add_f32_e32 v12, v12, v13
	v_sub_f32_e32 v10, v10, v12
	s_waitcnt lgkmcnt(0)
	v_div_scale_f32 v12, s[14:15], v14, v14, v10
	v_rcp_f32_e32 v13, v12
	v_div_scale_f32 v15, vcc, v10, v14, v10
	v_fma_f32 v16, -v12, v13, 1.0
	v_fmac_f32_e32 v13, v16, v13
	v_mul_f32_e32 v16, v15, v13
	v_fma_f32 v17, -v12, v16, v15
	v_fmac_f32_e32 v16, v17, v13
	v_fma_f32 v12, -v12, v16, v15
	v_div_fmas_f32 v12, v12, v13, v16
	v_div_fixup_f32 v10, v12, v14, v10
.LBB3_89:
	s_or_b64 exec, exec, s[12:13]
	v_cmp_gt_u32_e64 s[46:47], 17, v11
	v_mov_b32_e32 v12, 0
	s_and_saveexec_b64 s[12:13], s[46:47]
	s_cbranch_execz .LBB3_91
; %bb.90:
	ds_read_b32 v12, v8 offset:4352
	s_waitcnt lgkmcnt(0)
	v_fma_f32 v12, v10, v12, 0
.LBB3_91:
	s_or_b64 exec, exec, s[12:13]
	s_waitcnt lgkmcnt(0)
	ds_bpermute_b32 v13, v3, v12
	v_cmp_eq_u32_e64 s[12:13], 17, v11
	s_waitcnt lgkmcnt(0)
	v_add_f32_e32 v12, v12, v13
	ds_bpermute_b32 v13, v4, v12
	s_waitcnt lgkmcnt(0)
	v_add_f32_e32 v12, v12, v13
	ds_bpermute_b32 v13, v5, v12
	s_waitcnt lgkmcnt(0)
	v_add_f32_e32 v12, v12, v13
	ds_bpermute_b32 v13, v6, v12
	s_waitcnt lgkmcnt(0)
	v_add_f32_e32 v12, v12, v13
	ds_bpermute_b32 v13, v7, v12
	s_and_saveexec_b64 s[14:15], s[12:13]
	s_cbranch_execz .LBB3_93
; %bb.92:
	v_mov_b32_e32 v14, 0
	ds_read_b32 v14, v14 offset:4420
	s_waitcnt lgkmcnt(1)
	v_add_f32_e32 v12, v12, v13
	v_sub_f32_e32 v10, v10, v12
	s_waitcnt lgkmcnt(0)
	v_div_scale_f32 v12, s[16:17], v14, v14, v10
	v_rcp_f32_e32 v13, v12
	v_div_scale_f32 v15, vcc, v10, v14, v10
	v_fma_f32 v16, -v12, v13, 1.0
	v_fmac_f32_e32 v13, v16, v13
	v_mul_f32_e32 v16, v15, v13
	v_fma_f32 v17, -v12, v16, v15
	v_fmac_f32_e32 v16, v17, v13
	v_fma_f32 v12, -v12, v16, v15
	v_div_fmas_f32 v12, v12, v13, v16
	v_div_fixup_f32 v10, v12, v14, v10
.LBB3_93:
	s_or_b64 exec, exec, s[14:15]
	v_cmp_gt_u32_e64 s[48:49], 18, v11
	v_mov_b32_e32 v12, 0
	s_and_saveexec_b64 s[14:15], s[48:49]
	s_cbranch_execz .LBB3_95
; %bb.94:
	ds_read_b32 v12, v8 offset:4608
	s_waitcnt lgkmcnt(0)
	v_fma_f32 v12, v10, v12, 0
.LBB3_95:
	s_or_b64 exec, exec, s[14:15]
	s_waitcnt lgkmcnt(0)
	;; [unrolled: 47-line block ×14, first 2 shown]
	ds_bpermute_b32 v13, v3, v12
	v_cmp_eq_u32_e64 s[40:41], 30, v11
	s_waitcnt lgkmcnt(0)
	v_add_f32_e32 v12, v12, v13
	ds_bpermute_b32 v13, v4, v12
	s_waitcnt lgkmcnt(0)
	v_add_f32_e32 v12, v12, v13
	ds_bpermute_b32 v13, v5, v12
	;; [unrolled: 3-line block ×4, first 2 shown]
	s_and_saveexec_b64 s[42:43], s[40:41]
	s_cbranch_execz .LBB3_145
; %bb.144:
	v_mov_b32_e32 v14, 0
	ds_read_b32 v14, v14 offset:7800
	s_waitcnt lgkmcnt(1)
	v_add_f32_e32 v12, v12, v13
	v_sub_f32_e32 v10, v10, v12
	s_waitcnt lgkmcnt(0)
	v_div_scale_f32 v12, vcc, v14, v14, v10
	v_rcp_f32_e32 v13, v12
	v_div_scale_f32 v15, vcc, v10, v14, v10
	v_fma_f32 v16, -v12, v13, 1.0
	v_fmac_f32_e32 v13, v16, v13
	v_mul_f32_e32 v16, v15, v13
	v_fma_f32 v17, -v12, v16, v15
	v_fmac_f32_e32 v16, v17, v13
	v_fma_f32 v12, -v12, v16, v15
	v_div_fmas_f32 v12, v12, v13, v16
	v_div_fixup_f32 v10, v12, v14, v10
.LBB3_145:
	s_or_b64 exec, exec, s[42:43]
	v_mov_b32_e32 v12, 0
	v_cmp_gt_u32_e32 vcc, 31, v11
	s_mov_b64 s[42:43], exec
	v_writelane_b32 v18, vcc_lo, 40
	v_writelane_b32 v18, vcc_hi, 41
	s_and_b64 vcc, s[42:43], vcc
	s_mov_b64 exec, vcc
	s_cbranch_execz .LBB3_147
; %bb.146:
	ds_read_b32 v12, v8 offset:7936
	s_waitcnt lgkmcnt(0)
	v_fma_f32 v12, v10, v12, 0
.LBB3_147:
	s_or_b64 exec, exec, s[42:43]
	s_waitcnt lgkmcnt(0)
	ds_bpermute_b32 v13, v3, v12
	v_cmp_eq_u32_e32 vcc, 31, v11
	s_waitcnt lgkmcnt(0)
	v_add_f32_e32 v12, v12, v13
	ds_bpermute_b32 v13, v4, v12
	s_waitcnt lgkmcnt(0)
	v_add_f32_e32 v12, v12, v13
	ds_bpermute_b32 v13, v5, v12
	;; [unrolled: 3-line block ×4, first 2 shown]
	s_mov_b64 s[42:43], exec
	v_writelane_b32 v18, vcc_lo, 42
	v_writelane_b32 v18, vcc_hi, 43
	s_and_b64 vcc, s[42:43], vcc
	s_mov_b64 exec, vcc
	s_cbranch_execz .LBB3_149
; %bb.148:
	v_mov_b32_e32 v11, 0
	ds_read_b32 v11, v11 offset:8060
	s_waitcnt lgkmcnt(1)
	v_add_f32_e32 v12, v12, v13
	v_sub_f32_e32 v10, v10, v12
	s_waitcnt lgkmcnt(0)
	v_div_scale_f32 v12, vcc, v11, v11, v10
	v_rcp_f32_e32 v13, v12
	v_div_scale_f32 v14, vcc, v10, v11, v10
	v_fma_f32 v15, -v12, v13, 1.0
	v_fmac_f32_e32 v13, v15, v13
	v_mul_f32_e32 v15, v14, v13
	v_fma_f32 v16, -v12, v15, v14
	v_fmac_f32_e32 v15, v16, v13
	v_fma_f32 v12, -v12, v15, v14
	v_div_fmas_f32 v12, v12, v13, v15
	v_div_fixup_f32 v10, v12, v11, v10
.LBB3_149:
	s_or_b64 exec, exec, s[42:43]
	ds_read_b32 v11, v8 offset:8192
	s_waitcnt lgkmcnt(0)
	v_mul_f32_e32 v12, v10, v11
	ds_bpermute_b32 v12, v3, v12
	s_waitcnt lgkmcnt(0)
	v_fmac_f32_e32 v12, v10, v11
	ds_bpermute_b32 v11, v4, v12
	s_waitcnt lgkmcnt(0)
	v_add_f32_e32 v11, v12, v11
	ds_bpermute_b32 v12, v5, v11
	s_waitcnt lgkmcnt(0)
	v_add_f32_e32 v11, v11, v12
	;; [unrolled: 3-line block ×3, first 2 shown]
	ds_bpermute_b32 v12, v7, v11
	s_and_saveexec_b64 s[42:43], s[6:7]
	s_cbranch_execz .LBB3_151
; %bb.150:
	v_mov_b32_e32 v13, 0
	ds_read_b32 v13, v13 offset:8320
	s_waitcnt lgkmcnt(1)
	v_add_f32_e32 v11, v11, v12
	v_sub_f32_e32 v9, v9, v11
	s_waitcnt lgkmcnt(0)
	v_div_scale_f32 v11, vcc, v13, v13, v9
	v_rcp_f32_e32 v12, v11
	v_div_scale_f32 v14, vcc, v9, v13, v9
	v_fma_f32 v15, -v11, v12, 1.0
	v_fmac_f32_e32 v12, v15, v12
	v_mul_f32_e32 v15, v14, v12
	v_fma_f32 v16, -v11, v15, v14
	v_fmac_f32_e32 v15, v16, v12
	v_fma_f32 v11, -v11, v15, v14
	v_div_fmas_f32 v11, v11, v12, v15
	v_div_fixup_f32 v9, v11, v13, v9
.LBB3_151:
	s_or_b64 exec, exec, s[42:43]
	v_mov_b32_e32 v11, 0
	s_waitcnt lgkmcnt(0)
	ds_read_b32 v12, v8 offset:8448
	ds_read_b32 v13, v11 offset:8576
	s_waitcnt lgkmcnt(1)
	v_mul_f32_e32 v12, v10, v12
	s_waitcnt lgkmcnt(0)
	v_fma_f32 v13, v9, v13, v12
	v_cndmask_b32_e64 v12, v12, v13, s[6:7]
	ds_bpermute_b32 v13, v3, v12
	s_waitcnt lgkmcnt(0)
	v_add_f32_e32 v12, v12, v13
	ds_bpermute_b32 v13, v4, v12
	s_waitcnt lgkmcnt(0)
	v_add_f32_e32 v12, v12, v13
	;; [unrolled: 3-line block ×4, first 2 shown]
	ds_bpermute_b32 v13, v7, v12
	s_mov_b64 s[6:7], exec
	v_readlane_b32 s42, v18, 8
	v_readlane_b32 s43, v18, 9
	s_and_b64 s[42:43], s[6:7], s[42:43]
	s_mov_b64 exec, s[42:43]
	s_cbranch_execz .LBB3_153
; %bb.152:
	ds_read_b32 v11, v11 offset:8580
	s_waitcnt lgkmcnt(1)
	v_add_f32_e32 v12, v12, v13
	v_sub_f32_e32 v9, v9, v12
	s_waitcnt lgkmcnt(0)
	v_div_scale_f32 v12, s[42:43], v11, v11, v9
	v_rcp_f32_e32 v13, v12
	v_div_scale_f32 v14, vcc, v9, v11, v9
	v_fma_f32 v15, -v12, v13, 1.0
	v_fmac_f32_e32 v13, v15, v13
	v_mul_f32_e32 v15, v14, v13
	v_fma_f32 v16, -v12, v15, v14
	v_fmac_f32_e32 v15, v16, v13
	v_fma_f32 v12, -v12, v15, v14
	v_div_fmas_f32 v12, v12, v13, v15
	v_div_fixup_f32 v9, v12, v11, v9
.LBB3_153:
	s_or_b64 exec, exec, s[6:7]
	ds_read_b32 v11, v8 offset:8704
	s_waitcnt lgkmcnt(0)
	v_mul_f32_e32 v11, v10, v11
	s_mov_b64 s[6:7], exec
	v_readlane_b32 s42, v18, 10
	v_readlane_b32 s43, v18, 11
	s_and_b64 s[42:43], s[6:7], s[42:43]
	s_mov_b64 exec, s[42:43]
	s_cbranch_execz .LBB3_155
; %bb.154:
	ds_read_b32 v12, v8 offset:8832
	s_waitcnt lgkmcnt(0)
	v_fmac_f32_e32 v11, v9, v12
.LBB3_155:
	s_or_b64 exec, exec, s[6:7]
	ds_bpermute_b32 v12, v3, v11
	s_waitcnt lgkmcnt(0)
	v_add_f32_e32 v11, v11, v12
	ds_bpermute_b32 v12, v4, v11
	s_waitcnt lgkmcnt(0)
	v_add_f32_e32 v11, v11, v12
	ds_bpermute_b32 v12, v5, v11
	s_waitcnt lgkmcnt(0)
	v_add_f32_e32 v11, v11, v12
	ds_bpermute_b32 v12, v6, v11
	s_waitcnt lgkmcnt(0)
	v_add_f32_e32 v11, v11, v12
	ds_bpermute_b32 v12, v7, v11
	s_and_saveexec_b64 s[6:7], s[74:75]
	s_cbranch_execz .LBB3_157
; %bb.156:
	v_mov_b32_e32 v13, 0
	ds_read_b32 v13, v13 offset:8840
	s_waitcnt lgkmcnt(1)
	v_add_f32_e32 v11, v11, v12
	v_sub_f32_e32 v9, v9, v11
	s_waitcnt lgkmcnt(0)
	v_div_scale_f32 v11, s[42:43], v13, v13, v9
	v_rcp_f32_e32 v12, v11
	v_div_scale_f32 v14, vcc, v9, v13, v9
	v_fma_f32 v15, -v11, v12, 1.0
	v_fmac_f32_e32 v12, v15, v12
	v_mul_f32_e32 v15, v14, v12
	v_fma_f32 v16, -v11, v15, v14
	v_fmac_f32_e32 v15, v16, v12
	v_fma_f32 v11, -v11, v15, v14
	v_div_fmas_f32 v11, v11, v12, v15
	v_div_fixup_f32 v9, v11, v13, v9
.LBB3_157:
	s_or_b64 exec, exec, s[6:7]
	ds_read_b32 v11, v8 offset:8960
	s_waitcnt lgkmcnt(0)
	v_mul_f32_e32 v11, v10, v11
	s_mov_b64 s[6:7], exec
	v_readlane_b32 s42, v18, 12
	v_readlane_b32 s43, v18, 13
	s_and_b64 s[42:43], s[6:7], s[42:43]
	s_mov_b64 exec, s[42:43]
	s_cbranch_execz .LBB3_159
; %bb.158:
	ds_read_b32 v12, v8 offset:9088
	s_waitcnt lgkmcnt(0)
	v_fmac_f32_e32 v11, v9, v12
.LBB3_159:
	s_or_b64 exec, exec, s[6:7]
	ds_bpermute_b32 v12, v3, v11
	s_waitcnt lgkmcnt(0)
	v_add_f32_e32 v11, v11, v12
	ds_bpermute_b32 v12, v4, v11
	s_waitcnt lgkmcnt(0)
	v_add_f32_e32 v11, v11, v12
	ds_bpermute_b32 v12, v5, v11
	s_waitcnt lgkmcnt(0)
	v_add_f32_e32 v11, v11, v12
	ds_bpermute_b32 v12, v6, v11
	s_waitcnt lgkmcnt(0)
	v_add_f32_e32 v11, v11, v12
	ds_bpermute_b32 v12, v7, v11
	s_and_saveexec_b64 s[6:7], s[76:77]
	s_cbranch_execz .LBB3_161
; %bb.160:
	v_mov_b32_e32 v13, 0
	ds_read_b32 v13, v13 offset:9100
	s_waitcnt lgkmcnt(1)
	v_add_f32_e32 v11, v11, v12
	v_sub_f32_e32 v9, v9, v11
	s_waitcnt lgkmcnt(0)
	v_div_scale_f32 v11, s[42:43], v13, v13, v9
	v_rcp_f32_e32 v12, v11
	v_div_scale_f32 v14, vcc, v9, v13, v9
	v_fma_f32 v15, -v11, v12, 1.0
	v_fmac_f32_e32 v12, v15, v12
	v_mul_f32_e32 v15, v14, v12
	v_fma_f32 v16, -v11, v15, v14
	v_fmac_f32_e32 v15, v16, v12
	v_fma_f32 v11, -v11, v15, v14
	v_div_fmas_f32 v11, v11, v12, v15
	v_div_fixup_f32 v9, v11, v13, v9
.LBB3_161:
	;; [unrolled: 50-line block ×15, first 2 shown]
	s_or_b64 exec, exec, s[0:1]
	ds_read_b32 v11, v8 offset:12544
	s_waitcnt lgkmcnt(0)
	v_mul_f32_e32 v11, v10, v11
	s_and_saveexec_b64 s[0:1], s[46:47]
	s_cbranch_execz .LBB3_215
; %bb.214:
	ds_read_b32 v12, v8 offset:12672
	s_waitcnt lgkmcnt(0)
	v_fmac_f32_e32 v11, v9, v12
.LBB3_215:
	s_or_b64 exec, exec, s[0:1]
	ds_bpermute_b32 v12, v3, v11
	s_waitcnt lgkmcnt(0)
	v_add_f32_e32 v11, v11, v12
	ds_bpermute_b32 v12, v4, v11
	s_waitcnt lgkmcnt(0)
	v_add_f32_e32 v11, v11, v12
	ds_bpermute_b32 v12, v5, v11
	s_waitcnt lgkmcnt(0)
	v_add_f32_e32 v11, v11, v12
	ds_bpermute_b32 v12, v6, v11
	s_waitcnt lgkmcnt(0)
	v_add_f32_e32 v11, v11, v12
	ds_bpermute_b32 v12, v7, v11
	s_and_saveexec_b64 s[0:1], s[12:13]
	s_cbranch_execz .LBB3_217
; %bb.216:
	v_mov_b32_e32 v13, 0
	ds_read_b32 v13, v13 offset:12740
	s_waitcnt lgkmcnt(1)
	v_add_f32_e32 v11, v11, v12
	v_sub_f32_e32 v9, v9, v11
	s_waitcnt lgkmcnt(0)
	v_div_scale_f32 v11, s[2:3], v13, v13, v9
	v_rcp_f32_e32 v12, v11
	v_div_scale_f32 v14, vcc, v9, v13, v9
	v_fma_f32 v15, -v11, v12, 1.0
	v_fmac_f32_e32 v12, v15, v12
	v_mul_f32_e32 v15, v14, v12
	v_fma_f32 v16, -v11, v15, v14
	v_fmac_f32_e32 v15, v16, v12
	v_fma_f32 v11, -v11, v15, v14
	v_div_fmas_f32 v11, v11, v12, v15
	v_div_fixup_f32 v9, v11, v13, v9
.LBB3_217:
	s_or_b64 exec, exec, s[0:1]
	ds_read_b32 v11, v8 offset:12800
	s_waitcnt lgkmcnt(0)
	v_mul_f32_e32 v11, v10, v11
	s_and_saveexec_b64 s[0:1], s[48:49]
	s_cbranch_execz .LBB3_219
; %bb.218:
	ds_read_b32 v12, v8 offset:12928
	s_waitcnt lgkmcnt(0)
	v_fmac_f32_e32 v11, v9, v12
.LBB3_219:
	s_or_b64 exec, exec, s[0:1]
	ds_bpermute_b32 v12, v3, v11
	s_waitcnt lgkmcnt(0)
	v_add_f32_e32 v11, v11, v12
	ds_bpermute_b32 v12, v4, v11
	s_waitcnt lgkmcnt(0)
	v_add_f32_e32 v11, v11, v12
	ds_bpermute_b32 v12, v5, v11
	s_waitcnt lgkmcnt(0)
	v_add_f32_e32 v11, v11, v12
	ds_bpermute_b32 v12, v6, v11
	s_waitcnt lgkmcnt(0)
	v_add_f32_e32 v11, v11, v12
	ds_bpermute_b32 v12, v7, v11
	s_and_saveexec_b64 s[0:1], s[14:15]
	s_cbranch_execz .LBB3_221
; %bb.220:
	v_mov_b32_e32 v13, 0
	ds_read_b32 v13, v13 offset:13000
	s_waitcnt lgkmcnt(1)
	v_add_f32_e32 v11, v11, v12
	v_sub_f32_e32 v9, v9, v11
	s_waitcnt lgkmcnt(0)
	v_div_scale_f32 v11, s[2:3], v13, v13, v9
	v_rcp_f32_e32 v12, v11
	v_div_scale_f32 v14, vcc, v9, v13, v9
	v_fma_f32 v15, -v11, v12, 1.0
	v_fmac_f32_e32 v12, v15, v12
	v_mul_f32_e32 v15, v14, v12
	v_fma_f32 v16, -v11, v15, v14
	v_fmac_f32_e32 v15, v16, v12
	v_fma_f32 v11, -v11, v15, v14
	v_div_fmas_f32 v11, v11, v12, v15
	v_div_fixup_f32 v9, v11, v13, v9
.LBB3_221:
	;; [unrolled: 46-line block ×14, first 2 shown]
	s_or_b64 exec, exec, s[0:1]
	ds_read_b32 v11, v8 offset:16128
	s_load_dwordx2 s[0:1], s[4:5], 0x10
	s_waitcnt lgkmcnt(0)
	v_mul_f32_e32 v11, v10, v11
	s_mov_b64 s[2:3], exec
	v_readlane_b32 s4, v18, 40
	v_readlane_b32 s5, v18, 41
	s_and_b64 s[4:5], s[2:3], s[4:5]
	s_mov_b64 exec, s[4:5]
	s_cbranch_execz .LBB3_271
; %bb.270:
	ds_read_b32 v8, v8 offset:16256
	s_waitcnt lgkmcnt(0)
	v_fmac_f32_e32 v11, v9, v8
.LBB3_271:
	s_or_b64 exec, exec, s[2:3]
	ds_bpermute_b32 v3, v3, v11
	s_waitcnt lgkmcnt(0)
	v_add_f32_e32 v3, v11, v3
	ds_bpermute_b32 v4, v4, v3
	s_waitcnt lgkmcnt(0)
	v_add_f32_e32 v3, v3, v4
	;; [unrolled: 3-line block ×4, first 2 shown]
	ds_bpermute_b32 v4, v7, v3
	s_mov_b64 s[2:3], exec
	v_readlane_b32 s4, v18, 42
	v_readlane_b32 s5, v18, 43
	s_and_b64 s[4:5], s[2:3], s[4:5]
	s_mov_b64 exec, s[4:5]
	s_cbranch_execz .LBB3_273
; %bb.272:
	v_mov_b32_e32 v5, 0
	ds_read_b32 v5, v5 offset:16380
	s_waitcnt lgkmcnt(1)
	v_add_f32_e32 v3, v3, v4
	v_sub_f32_e32 v3, v9, v3
	s_waitcnt lgkmcnt(0)
	v_div_scale_f32 v4, s[4:5], v5, v5, v3
	v_rcp_f32_e32 v6, v4
	v_div_scale_f32 v7, vcc, v3, v5, v3
	v_fma_f32 v8, -v4, v6, 1.0
	v_fmac_f32_e32 v6, v8, v6
	v_mul_f32_e32 v8, v7, v6
	v_fma_f32 v9, -v4, v8, v7
	v_fmac_f32_e32 v8, v9, v6
	v_fma_f32 v4, -v4, v8, v7
	v_div_fmas_f32 v4, v4, v6, v8
	v_div_fixup_f32 v9, v4, v5, v3
.LBB3_273:
	s_or_b64 exec, exec, s[2:3]
	v_readlane_b32 s4, v18, 0
	v_readlane_b32 s5, v18, 1
	;; [unrolled: 1-line block ×4, first 2 shown]
	s_mul_i32 s2, s44, s5
	s_mul_hi_u32 s3, s44, s4
	s_add_i32 s3, s3, s2
	s_mul_i32 s2, s44, s4
	s_mul_i32 s4, s33, s7
	s_mul_hi_u32 s5, s33, s6
	s_add_i32 s5, s5, s4
	s_lshl_b64 s[2:3], s[2:3], 2
	s_mul_i32 s4, s33, s6
	s_add_u32 s2, s0, s2
	s_addc_u32 s3, s1, s3
	s_lshl_b64 s[0:1], s[4:5], 2
	s_add_u32 s0, s2, s0
	s_addc_u32 s1, s3, s1
	s_mov_b64 s[2:3], exec
	v_readlane_b32 s4, v18, 4
	v_readlane_b32 s5, v18, 5
	s_and_b64 s[4:5], s[2:3], s[4:5]
	s_mov_b64 exec, s[4:5]
	s_cbranch_execz .LBB3_275
; %bb.274:
	v_readlane_b32 s4, v18, 6
	v_readlane_b32 s5, v18, 7
	v_cndmask_b32_e64 v3, v9, v10, s[4:5]
	v_add_lshl_u32 v0, v0, v1, 2
	global_store_dword v0, v3, s[0:1]
.LBB3_275:
	s_or_b64 exec, exec, s[2:3]
	v_readlane_b32 s2, v18, 6
	v_readlane_b32 s3, v18, 7
	s_and_b64 exec, exec, s[2:3]
	s_cbranch_execz .LBB3_277
; %bb.276:
	v_add_lshl_u32 v0, v2, v1, 2
	global_store_dword v0, v9, s[0:1]
.LBB3_277:
	s_endpgm
	.section	.rodata,"a",@progbits
	.p2align	6, 0x0
	.amdhsa_kernel _ZL18solve_tri_f32_fastILi64ELi14EEvPKfS1_Pf15HIP_vector_typeIjLj3EEmmmmmmii
		.amdhsa_group_segment_fixed_size 16384
		.amdhsa_private_segment_fixed_size 0
		.amdhsa_kernarg_size 352
		.amdhsa_user_sgpr_count 6
		.amdhsa_user_sgpr_private_segment_buffer 1
		.amdhsa_user_sgpr_dispatch_ptr 0
		.amdhsa_user_sgpr_queue_ptr 0
		.amdhsa_user_sgpr_kernarg_segment_ptr 1
		.amdhsa_user_sgpr_dispatch_id 0
		.amdhsa_user_sgpr_flat_scratch_init 0
		.amdhsa_user_sgpr_kernarg_preload_length 0
		.amdhsa_user_sgpr_kernarg_preload_offset 0
		.amdhsa_user_sgpr_private_segment_size 0
		.amdhsa_uses_dynamic_stack 0
		.amdhsa_system_sgpr_private_segment_wavefront_offset 0
		.amdhsa_system_sgpr_workgroup_id_x 1
		.amdhsa_system_sgpr_workgroup_id_y 0
		.amdhsa_system_sgpr_workgroup_id_z 0
		.amdhsa_system_sgpr_workgroup_info 0
		.amdhsa_system_vgpr_workitem_id 1
		.amdhsa_next_free_vgpr 19
		.amdhsa_next_free_sgpr 96
		.amdhsa_accum_offset 20
		.amdhsa_reserve_vcc 1
		.amdhsa_reserve_flat_scratch 0
		.amdhsa_float_round_mode_32 0
		.amdhsa_float_round_mode_16_64 0
		.amdhsa_float_denorm_mode_32 3
		.amdhsa_float_denorm_mode_16_64 3
		.amdhsa_dx10_clamp 1
		.amdhsa_ieee_mode 1
		.amdhsa_fp16_overflow 0
		.amdhsa_tg_split 0
		.amdhsa_exception_fp_ieee_invalid_op 0
		.amdhsa_exception_fp_denorm_src 0
		.amdhsa_exception_fp_ieee_div_zero 0
		.amdhsa_exception_fp_ieee_overflow 0
		.amdhsa_exception_fp_ieee_underflow 0
		.amdhsa_exception_fp_ieee_inexact 0
		.amdhsa_exception_int_div_zero 0
	.end_amdhsa_kernel
	.section	.text._ZL18solve_tri_f32_fastILi64ELi14EEvPKfS1_Pf15HIP_vector_typeIjLj3EEmmmmmmii,"axG",@progbits,_ZL18solve_tri_f32_fastILi64ELi14EEvPKfS1_Pf15HIP_vector_typeIjLj3EEmmmmmmii,comdat
.Lfunc_end3:
	.size	_ZL18solve_tri_f32_fastILi64ELi14EEvPKfS1_Pf15HIP_vector_typeIjLj3EEmmmmmmii, .Lfunc_end3-_ZL18solve_tri_f32_fastILi64ELi14EEvPKfS1_Pf15HIP_vector_typeIjLj3EEmmmmmmii
                                        ; -- End function
	.section	.AMDGPU.csdata,"",@progbits
; Kernel info:
; codeLenInByte = 16944
; NumSgprs: 100
; NumVgprs: 19
; NumAgprs: 0
; TotalNumVgprs: 19
; ScratchSize: 0
; MemoryBound: 0
; FloatMode: 240
; IeeeMode: 1
; LDSByteSize: 16384 bytes/workgroup (compile time only)
; SGPRBlocks: 12
; VGPRBlocks: 2
; NumSGPRsForWavesPerEU: 100
; NumVGPRsForWavesPerEU: 19
; AccumOffset: 20
; Occupancy: 8
; WaveLimiterHint : 0
; COMPUTE_PGM_RSRC2:SCRATCH_EN: 0
; COMPUTE_PGM_RSRC2:USER_SGPR: 6
; COMPUTE_PGM_RSRC2:TRAP_HANDLER: 0
; COMPUTE_PGM_RSRC2:TGID_X_EN: 1
; COMPUTE_PGM_RSRC2:TGID_Y_EN: 0
; COMPUTE_PGM_RSRC2:TGID_Z_EN: 0
; COMPUTE_PGM_RSRC2:TIDIG_COMP_CNT: 1
; COMPUTE_PGM_RSRC3_GFX90A:ACCUM_OFFSET: 4
; COMPUTE_PGM_RSRC3_GFX90A:TG_SPLIT: 0
	.section	.text._ZL18solve_tri_f32_fastILi64ELi12EEvPKfS1_Pf15HIP_vector_typeIjLj3EEmmmmmmii,"axG",@progbits,_ZL18solve_tri_f32_fastILi64ELi12EEvPKfS1_Pf15HIP_vector_typeIjLj3EEmmmmmmii,comdat
	.globl	_ZL18solve_tri_f32_fastILi64ELi12EEvPKfS1_Pf15HIP_vector_typeIjLj3EEmmmmmmii ; -- Begin function _ZL18solve_tri_f32_fastILi64ELi12EEvPKfS1_Pf15HIP_vector_typeIjLj3EEmmmmmmii
	.p2align	8
	.type	_ZL18solve_tri_f32_fastILi64ELi12EEvPKfS1_Pf15HIP_vector_typeIjLj3EEmmmmmmii,@function
_ZL18solve_tri_f32_fastILi64ELi12EEvPKfS1_Pf15HIP_vector_typeIjLj3EEmmmmmmii: ; @_ZL18solve_tri_f32_fastILi64ELi12EEvPKfS1_Pf15HIP_vector_typeIjLj3EEmmmmmmii
; %bb.0:
	v_bfe_u32 v1, v0, 10, 10
	v_cmp_gt_u32_e32 vcc, 12, v1
	s_and_saveexec_b64 s[0:1], vcc
	s_cbranch_execz .LBB4_279
; %bb.1:
	s_load_dwordx4 s[0:3], s[4:5], 0x18
	s_load_dwordx2 s[16:17], s[4:5], 0x0
	s_load_dwordx8 s[8:15], s[4:5], 0x28
	v_and_b32_e32 v11, 0x3ff, v0
	s_waitcnt lgkmcnt(0)
	s_mul_hi_u32 s0, s0, s6
	s_add_i32 s0, s6, s0
	s_lshr_b32 s33, s0, s1
	s_mul_i32 s0, s33, s2
	s_sub_i32 s44, s6, s0
	s_mul_i32 s0, s44, s9
	s_mul_hi_u32 s1, s44, s8
	s_add_i32 s1, s1, s0
	s_mul_i32 s0, s44, s8
	s_lshl_b64 s[0:1], s[0:1], 2
	s_add_u32 s2, s16, s0
	s_load_dword s6, s[4:5], 0x6c
	s_addc_u32 s3, s17, s1
	s_mul_i32 s0, s33, s11
	s_mul_hi_u32 s1, s33, s10
	s_add_i32 s1, s1, s0
	s_mul_i32 s0, s33, s10
	s_lshl_b64 s[0:1], s[0:1], 2
	s_add_u32 s0, s2, s0
	s_addc_u32 s1, s3, s1
	s_waitcnt lgkmcnt(0)
	s_and_b32 s2, s6, 0xffff
	v_mad_u32_u24 v2, v1, s2, v11
	s_movk_i32 s2, 0x1000
	v_cmp_gt_u32_e32 vcc, s2, v2
	v_lshlrev_b32_e32 v0, 2, v2
	s_and_saveexec_b64 s[2:3], vcc
	s_cbranch_execz .LBB4_3
; %bb.2:
	global_load_dword v3, v0, s[0:1]
	s_waitcnt vmcnt(0)
	ds_write_b32 v0, v3
.LBB4_3:
	s_or_b64 exec, exec, s[2:3]
	s_movk_i32 s2, 0xe80
	v_cmp_gt_u32_e32 vcc, s2, v2
	s_and_saveexec_b64 s[2:3], vcc
	s_cbranch_execz .LBB4_5
; %bb.4:
	global_load_dword v3, v0, s[0:1] offset:1536
	s_waitcnt vmcnt(0)
	ds_write_b32 v0, v3 offset:1536
.LBB4_5:
	s_or_b64 exec, exec, s[2:3]
	s_movk_i32 s2, 0xd00
	v_cmp_gt_u32_e32 vcc, s2, v2
	s_and_saveexec_b64 s[2:3], vcc
	s_cbranch_execz .LBB4_7
; %bb.6:
	global_load_dword v3, v0, s[0:1] offset:3072
	s_waitcnt vmcnt(0)
	ds_write_b32 v0, v3 offset:3072
.LBB4_7:
	s_or_b64 exec, exec, s[2:3]
	s_movk_i32 s2, 0xb80
	v_cmp_gt_u32_e32 vcc, s2, v2
	s_and_saveexec_b64 s[2:3], vcc
	s_cbranch_execz .LBB4_9
; %bb.8:
	v_add_u32_e32 v3, 0x1200, v0
	global_load_dword v3, v3, s[0:1]
	s_waitcnt vmcnt(0)
	ds_write_b32 v0, v3 offset:4608
.LBB4_9:
	s_or_b64 exec, exec, s[2:3]
	s_movk_i32 s2, 0xa00
	v_cmp_gt_u32_e32 vcc, s2, v2
	s_and_saveexec_b64 s[2:3], vcc
	s_cbranch_execz .LBB4_11
; %bb.10:
	v_add_u32_e32 v3, 0x1800, v0
	global_load_dword v3, v3, s[0:1]
	s_waitcnt vmcnt(0)
	ds_write_b32 v0, v3 offset:6144
.LBB4_11:
	;; [unrolled: 11-line block ×5, first 2 shown]
	s_or_b64 exec, exec, s[2:3]
	s_load_dwordx4 s[8:11], s[4:5], 0x48
                                        ; implicit-def: $vgpr18 : SGPR spill to VGPR lane
	s_movk_i32 s2, 0x400
	v_cmp_gt_u32_e32 vcc, s2, v2
	s_waitcnt lgkmcnt(0)
	v_writelane_b32 v18, s8, 0
	v_writelane_b32 v18, s9, 1
	;; [unrolled: 1-line block ×4, first 2 shown]
	s_and_saveexec_b64 s[2:3], vcc
	s_cbranch_execz .LBB4_19
; %bb.18:
	v_or_b32_e32 v3, 0x3000, v0
	global_load_dword v3, v3, s[0:1]
	s_waitcnt vmcnt(0)
	ds_write_b32 v0, v3 offset:12288
.LBB4_19:
	s_or_b64 exec, exec, s[2:3]
	s_load_dwordx2 s[2:3], s[4:5], 0x8
	s_movk_i32 s6, 0x280
	v_cmp_gt_u32_e32 vcc, s6, v2
	s_and_saveexec_b64 s[6:7], vcc
	s_cbranch_execz .LBB4_21
; %bb.20:
	v_add_u32_e32 v3, 0x3600, v0
	global_load_dword v3, v3, s[0:1]
	s_waitcnt vmcnt(0)
	ds_write_b32 v0, v3 offset:13824
.LBB4_21:
	s_or_b64 exec, exec, s[6:7]
	s_movk_i32 s6, 0x100
	v_cmp_gt_u32_e32 vcc, s6, v2
	s_and_saveexec_b64 s[6:7], vcc
	s_cbranch_execz .LBB4_23
; %bb.22:
	v_or_b32_e32 v2, 0x3c00, v0
	global_load_dword v2, v2, s[0:1]
	s_waitcnt vmcnt(0)
	ds_write_b32 v0, v2 offset:15360
.LBB4_23:
	s_or_b64 exec, exec, s[6:7]
	s_mul_i32 s0, s44, s13
	s_mul_hi_u32 s1, s44, s12
	s_add_i32 s1, s1, s0
	s_mul_i32 s0, s44, s12
	s_mul_i32 s6, s33, s15
	s_mul_hi_u32 s7, s33, s14
	s_add_i32 s7, s7, s6
	s_lshl_b64 s[0:1], s[0:1], 2
	s_mul_i32 s6, s33, s14
	s_waitcnt lgkmcnt(0)
	s_add_u32 s2, s2, s0
	s_addc_u32 s3, s3, s1
	s_lshl_b64 s[0:1], s[6:7], 2
	s_add_u32 s0, s2, s0
	s_addc_u32 s1, s3, s1
	v_mov_b32_e32 v9, 0
	v_mul_u32_u24_e32 v0, 12, v11
	v_mov_b32_e32 v10, 0
	s_barrier
	v_cmp_gt_u32_e64 s[6:7], 64, v11
	s_mov_b64 s[2:3], exec
	v_writelane_b32 v18, s6, 4
	v_writelane_b32 v18, s7, 5
	s_and_b64 s[6:7], s[2:3], s[6:7]
	s_mov_b64 exec, s[6:7]
	s_cbranch_execz .LBB4_25
; %bb.24:
	v_add_lshl_u32 v2, v0, v1, 2
	global_load_dword v10, v2, s[0:1]
.LBB4_25:
	s_or_b64 exec, exec, s[2:3]
	v_add_u32_e32 v2, 32, v11
	v_mul_u32_u24_e32 v2, 12, v2
	v_cmp_gt_u32_e64 s[6:7], 32, v11
	s_mov_b64 s[2:3], exec
	v_writelane_b32 v18, s6, 6
	v_writelane_b32 v18, s7, 7
	s_and_b64 s[6:7], s[2:3], s[6:7]
	s_mov_b64 exec, s[6:7]
	s_cbranch_execz .LBB4_27
; %bb.26:
	v_add_lshl_u32 v3, v2, v1, 2
	global_load_dword v9, v3, s[0:1]
.LBB4_27:
	s_or_b64 exec, exec, s[2:3]
	v_mbcnt_lo_u32_b32 v3, -1, 0
	v_mbcnt_hi_u32_b32 v7, -1, v3
	v_and_b32_e32 v3, 0x60, v7
	v_add_u32_e32 v12, 32, v3
	v_xor_b32_e32 v3, 16, v7
	v_cmp_lt_i32_e32 vcc, v3, v12
	v_cndmask_b32_e32 v3, v7, v3, vcc
	v_mov_b32_e32 v8, 0
	v_lshlrev_b32_e32 v3, 2, v3
	ds_bpermute_b32 v5, v3, v8
	v_xor_b32_e32 v4, 8, v7
	v_cmp_lt_i32_e32 vcc, v4, v12
	v_cndmask_b32_e32 v4, v7, v4, vcc
	v_lshlrev_b32_e32 v4, 2, v4
	s_waitcnt lgkmcnt(0)
	v_add_f32_e32 v6, 0, v5
	ds_bpermute_b32 v13, v4, v6
	v_xor_b32_e32 v5, 4, v7
	v_cmp_lt_i32_e32 vcc, v5, v12
	v_cndmask_b32_e32 v5, v7, v5, vcc
	v_lshlrev_b32_e32 v5, 2, v5
	s_waitcnt lgkmcnt(0)
	v_add_f32_e32 v13, v6, v13
	;; [unrolled: 7-line block ×4, first 2 shown]
	ds_bpermute_b32 v13, v7, v12
	v_cmp_eq_u32_e64 s[6:7], 0, v11
	s_and_saveexec_b64 s[0:1], s[6:7]
	s_cbranch_execz .LBB4_29
; %bb.28:
	ds_read_b32 v14, v8
	s_waitcnt lgkmcnt(1)
	v_add_f32_e32 v12, v12, v13
	s_waitcnt vmcnt(0)
	v_sub_f32_e32 v10, v10, v12
	s_waitcnt lgkmcnt(0)
	v_div_scale_f32 v12, s[2:3], v14, v14, v10
	v_rcp_f32_e32 v13, v12
	v_div_scale_f32 v15, vcc, v10, v14, v10
	v_fma_f32 v16, -v12, v13, 1.0
	v_fmac_f32_e32 v13, v16, v13
	v_mul_f32_e32 v16, v15, v13
	v_fma_f32 v17, -v12, v16, v15
	v_fmac_f32_e32 v16, v17, v13
	v_fma_f32 v12, -v12, v16, v15
	v_div_fmas_f32 v12, v12, v13, v16
	v_div_fixup_f32 v10, v12, v14, v10
.LBB4_29:
	s_or_b64 exec, exec, s[0:1]
	ds_read_b32 v8, v8 offset:256
	v_cmp_eq_u32_e64 s[2:3], 1, v11
	s_waitcnt vmcnt(0) lgkmcnt(0)
	v_fma_f32 v8, v10, v8, 0
	v_cndmask_b32_e64 v8, 0, v8, s[6:7]
	ds_bpermute_b32 v12, v3, v8
	s_waitcnt lgkmcnt(0)
	v_add_f32_e32 v8, v8, v12
	ds_bpermute_b32 v12, v4, v8
	s_waitcnt lgkmcnt(0)
	v_add_f32_e32 v8, v8, v12
	;; [unrolled: 3-line block ×4, first 2 shown]
	ds_bpermute_b32 v12, v7, v8
	s_mov_b64 s[0:1], exec
	v_writelane_b32 v18, s2, 8
	v_writelane_b32 v18, s3, 9
	s_and_b64 s[2:3], s[0:1], s[2:3]
	s_mov_b64 exec, s[2:3]
	s_cbranch_execz .LBB4_31
; %bb.30:
	v_mov_b32_e32 v13, 0
	ds_read_b32 v13, v13 offset:260
	s_waitcnt lgkmcnt(1)
	v_add_f32_e32 v8, v8, v12
	v_sub_f32_e32 v8, v10, v8
	s_waitcnt lgkmcnt(0)
	v_div_scale_f32 v10, s[2:3], v13, v13, v8
	v_rcp_f32_e32 v12, v10
	v_div_scale_f32 v14, vcc, v8, v13, v8
	v_fma_f32 v15, -v10, v12, 1.0
	v_fmac_f32_e32 v12, v15, v12
	v_mul_f32_e32 v15, v14, v12
	v_fma_f32 v16, -v10, v15, v14
	v_fmac_f32_e32 v15, v16, v12
	v_fma_f32 v10, -v10, v15, v14
	v_div_fmas_f32 v10, v10, v12, v15
	v_div_fixup_f32 v10, v10, v13, v8
.LBB4_31:
	s_or_b64 exec, exec, s[0:1]
	s_waitcnt lgkmcnt(0)
	v_mov_b32_e32 v12, 0
	v_lshlrev_b32_e32 v8, 2, v11
	v_cmp_gt_u32_e64 s[2:3], 2, v11
	s_mov_b64 s[0:1], exec
	v_writelane_b32 v18, s2, 10
	v_writelane_b32 v18, s3, 11
	s_and_b64 s[2:3], s[0:1], s[2:3]
	s_mov_b64 exec, s[2:3]
	s_cbranch_execz .LBB4_33
; %bb.32:
	ds_read_b32 v12, v8 offset:512
	s_waitcnt lgkmcnt(0)
	v_fma_f32 v12, v10, v12, 0
.LBB4_33:
	s_or_b64 exec, exec, s[0:1]
	ds_bpermute_b32 v13, v3, v12
	v_cmp_eq_u32_e64 s[74:75], 2, v11
	s_waitcnt lgkmcnt(0)
	v_add_f32_e32 v12, v12, v13
	ds_bpermute_b32 v13, v4, v12
	s_waitcnt lgkmcnt(0)
	v_add_f32_e32 v12, v12, v13
	ds_bpermute_b32 v13, v5, v12
	s_waitcnt lgkmcnt(0)
	v_add_f32_e32 v12, v12, v13
	ds_bpermute_b32 v13, v6, v12
	s_waitcnt lgkmcnt(0)
	v_add_f32_e32 v12, v12, v13
	ds_bpermute_b32 v13, v7, v12
	s_and_saveexec_b64 s[0:1], s[74:75]
	s_cbranch_execz .LBB4_35
; %bb.34:
	v_mov_b32_e32 v14, 0
	ds_read_b32 v14, v14 offset:520
	s_waitcnt lgkmcnt(1)
	v_add_f32_e32 v12, v12, v13
	v_sub_f32_e32 v10, v10, v12
	s_waitcnt lgkmcnt(0)
	v_div_scale_f32 v12, s[2:3], v14, v14, v10
	v_rcp_f32_e32 v13, v12
	v_div_scale_f32 v15, vcc, v10, v14, v10
	v_fma_f32 v16, -v12, v13, 1.0
	v_fmac_f32_e32 v13, v16, v13
	v_mul_f32_e32 v16, v15, v13
	v_fma_f32 v17, -v12, v16, v15
	v_fmac_f32_e32 v16, v17, v13
	v_fma_f32 v12, -v12, v16, v15
	v_div_fmas_f32 v12, v12, v13, v16
	v_div_fixup_f32 v10, v12, v14, v10
.LBB4_35:
	s_or_b64 exec, exec, s[0:1]
	v_mov_b32_e32 v12, 0
	v_cmp_gt_u32_e64 s[2:3], 3, v11
	s_mov_b64 s[0:1], exec
	v_writelane_b32 v18, s2, 12
	v_writelane_b32 v18, s3, 13
	s_and_b64 s[2:3], s[0:1], s[2:3]
	s_mov_b64 exec, s[2:3]
	s_cbranch_execz .LBB4_37
; %bb.36:
	ds_read_b32 v12, v8 offset:768
	s_waitcnt lgkmcnt(0)
	v_fma_f32 v12, v10, v12, 0
.LBB4_37:
	s_or_b64 exec, exec, s[0:1]
	s_waitcnt lgkmcnt(0)
	ds_bpermute_b32 v13, v3, v12
	v_cmp_eq_u32_e64 s[76:77], 3, v11
	s_waitcnt lgkmcnt(0)
	v_add_f32_e32 v12, v12, v13
	ds_bpermute_b32 v13, v4, v12
	s_waitcnt lgkmcnt(0)
	v_add_f32_e32 v12, v12, v13
	ds_bpermute_b32 v13, v5, v12
	s_waitcnt lgkmcnt(0)
	v_add_f32_e32 v12, v12, v13
	ds_bpermute_b32 v13, v6, v12
	s_waitcnt lgkmcnt(0)
	v_add_f32_e32 v12, v12, v13
	ds_bpermute_b32 v13, v7, v12
	s_and_saveexec_b64 s[0:1], s[76:77]
	s_cbranch_execz .LBB4_39
; %bb.38:
	v_mov_b32_e32 v14, 0
	ds_read_b32 v14, v14 offset:780
	s_waitcnt lgkmcnt(1)
	v_add_f32_e32 v12, v12, v13
	v_sub_f32_e32 v10, v10, v12
	s_waitcnt lgkmcnt(0)
	v_div_scale_f32 v12, s[2:3], v14, v14, v10
	v_rcp_f32_e32 v13, v12
	v_div_scale_f32 v15, vcc, v10, v14, v10
	v_fma_f32 v16, -v12, v13, 1.0
	v_fmac_f32_e32 v13, v16, v13
	v_mul_f32_e32 v16, v15, v13
	v_fma_f32 v17, -v12, v16, v15
	v_fmac_f32_e32 v16, v17, v13
	v_fma_f32 v12, -v12, v16, v15
	v_div_fmas_f32 v12, v12, v13, v16
	v_div_fixup_f32 v10, v12, v14, v10
.LBB4_39:
	s_or_b64 exec, exec, s[0:1]
	v_mov_b32_e32 v12, 0
	v_cmp_gt_u32_e64 s[2:3], 4, v11
	s_mov_b64 s[0:1], exec
	v_writelane_b32 v18, s2, 14
	v_writelane_b32 v18, s3, 15
	s_and_b64 s[2:3], s[0:1], s[2:3]
	s_mov_b64 exec, s[2:3]
	s_cbranch_execz .LBB4_41
; %bb.40:
	ds_read_b32 v12, v8 offset:1024
	s_waitcnt lgkmcnt(0)
	v_fma_f32 v12, v10, v12, 0
.LBB4_41:
	s_or_b64 exec, exec, s[0:1]
	s_waitcnt lgkmcnt(0)
	;; [unrolled: 51-line block ×14, first 2 shown]
	ds_bpermute_b32 v13, v3, v12
	v_cmp_eq_u32_e64 s[10:11], 16, v11
	s_waitcnt lgkmcnt(0)
	v_add_f32_e32 v12, v12, v13
	ds_bpermute_b32 v13, v4, v12
	s_waitcnt lgkmcnt(0)
	v_add_f32_e32 v12, v12, v13
	ds_bpermute_b32 v13, v5, v12
	s_waitcnt lgkmcnt(0)
	v_add_f32_e32 v12, v12, v13
	ds_bpermute_b32 v13, v6, v12
	s_waitcnt lgkmcnt(0)
	v_add_f32_e32 v12, v12, v13
	ds_bpermute_b32 v13, v7, v12
	s_and_saveexec_b64 s[12:13], s[10:11]
	s_cbranch_execz .LBB4_91
; %bb.90:
	v_mov_b32_e32 v14, 0
	ds_read_b32 v14, v14 offset:4160
	s_waitcnt lgkmcnt(1)
	v_add_f32_e32 v12, v12, v13
	v_sub_f32_e32 v10, v10, v12
	s_waitcnt lgkmcnt(0)
	v_div_scale_f32 v12, s[14:15], v14, v14, v10
	v_rcp_f32_e32 v13, v12
	v_div_scale_f32 v15, vcc, v10, v14, v10
	v_fma_f32 v16, -v12, v13, 1.0
	v_fmac_f32_e32 v13, v16, v13
	v_mul_f32_e32 v16, v15, v13
	v_fma_f32 v17, -v12, v16, v15
	v_fmac_f32_e32 v16, v17, v13
	v_fma_f32 v12, -v12, v16, v15
	v_div_fmas_f32 v12, v12, v13, v16
	v_div_fixup_f32 v10, v12, v14, v10
.LBB4_91:
	s_or_b64 exec, exec, s[12:13]
	v_cmp_gt_u32_e64 s[46:47], 17, v11
	v_mov_b32_e32 v12, 0
	s_and_saveexec_b64 s[12:13], s[46:47]
	s_cbranch_execz .LBB4_93
; %bb.92:
	ds_read_b32 v12, v8 offset:4352
	s_waitcnt lgkmcnt(0)
	v_fma_f32 v12, v10, v12, 0
.LBB4_93:
	s_or_b64 exec, exec, s[12:13]
	s_waitcnt lgkmcnt(0)
	ds_bpermute_b32 v13, v3, v12
	v_cmp_eq_u32_e64 s[12:13], 17, v11
	s_waitcnt lgkmcnt(0)
	v_add_f32_e32 v12, v12, v13
	ds_bpermute_b32 v13, v4, v12
	s_waitcnt lgkmcnt(0)
	v_add_f32_e32 v12, v12, v13
	ds_bpermute_b32 v13, v5, v12
	s_waitcnt lgkmcnt(0)
	v_add_f32_e32 v12, v12, v13
	ds_bpermute_b32 v13, v6, v12
	s_waitcnt lgkmcnt(0)
	v_add_f32_e32 v12, v12, v13
	ds_bpermute_b32 v13, v7, v12
	s_and_saveexec_b64 s[14:15], s[12:13]
	s_cbranch_execz .LBB4_95
; %bb.94:
	v_mov_b32_e32 v14, 0
	ds_read_b32 v14, v14 offset:4420
	s_waitcnt lgkmcnt(1)
	v_add_f32_e32 v12, v12, v13
	v_sub_f32_e32 v10, v10, v12
	s_waitcnt lgkmcnt(0)
	v_div_scale_f32 v12, s[16:17], v14, v14, v10
	v_rcp_f32_e32 v13, v12
	v_div_scale_f32 v15, vcc, v10, v14, v10
	v_fma_f32 v16, -v12, v13, 1.0
	v_fmac_f32_e32 v13, v16, v13
	v_mul_f32_e32 v16, v15, v13
	v_fma_f32 v17, -v12, v16, v15
	v_fmac_f32_e32 v16, v17, v13
	v_fma_f32 v12, -v12, v16, v15
	v_div_fmas_f32 v12, v12, v13, v16
	v_div_fixup_f32 v10, v12, v14, v10
.LBB4_95:
	s_or_b64 exec, exec, s[14:15]
	v_cmp_gt_u32_e64 s[48:49], 18, v11
	v_mov_b32_e32 v12, 0
	s_and_saveexec_b64 s[14:15], s[48:49]
	s_cbranch_execz .LBB4_97
; %bb.96:
	ds_read_b32 v12, v8 offset:4608
	s_waitcnt lgkmcnt(0)
	v_fma_f32 v12, v10, v12, 0
.LBB4_97:
	s_or_b64 exec, exec, s[14:15]
	s_waitcnt lgkmcnt(0)
	;; [unrolled: 47-line block ×14, first 2 shown]
	ds_bpermute_b32 v13, v3, v12
	v_cmp_eq_u32_e64 s[40:41], 30, v11
	s_waitcnt lgkmcnt(0)
	v_add_f32_e32 v12, v12, v13
	ds_bpermute_b32 v13, v4, v12
	s_waitcnt lgkmcnt(0)
	v_add_f32_e32 v12, v12, v13
	ds_bpermute_b32 v13, v5, v12
	s_waitcnt lgkmcnt(0)
	v_add_f32_e32 v12, v12, v13
	ds_bpermute_b32 v13, v6, v12
	s_waitcnt lgkmcnt(0)
	v_add_f32_e32 v12, v12, v13
	ds_bpermute_b32 v13, v7, v12
	s_and_saveexec_b64 s[42:43], s[40:41]
	s_cbranch_execz .LBB4_147
; %bb.146:
	v_mov_b32_e32 v14, 0
	ds_read_b32 v14, v14 offset:7800
	s_waitcnt lgkmcnt(1)
	v_add_f32_e32 v12, v12, v13
	v_sub_f32_e32 v10, v10, v12
	s_waitcnt lgkmcnt(0)
	v_div_scale_f32 v12, vcc, v14, v14, v10
	v_rcp_f32_e32 v13, v12
	v_div_scale_f32 v15, vcc, v10, v14, v10
	v_fma_f32 v16, -v12, v13, 1.0
	v_fmac_f32_e32 v13, v16, v13
	v_mul_f32_e32 v16, v15, v13
	v_fma_f32 v17, -v12, v16, v15
	v_fmac_f32_e32 v16, v17, v13
	v_fma_f32 v12, -v12, v16, v15
	v_div_fmas_f32 v12, v12, v13, v16
	v_div_fixup_f32 v10, v12, v14, v10
.LBB4_147:
	s_or_b64 exec, exec, s[42:43]
	v_mov_b32_e32 v12, 0
	v_cmp_gt_u32_e32 vcc, 31, v11
	s_mov_b64 s[42:43], exec
	v_writelane_b32 v18, vcc_lo, 40
	v_writelane_b32 v18, vcc_hi, 41
	s_and_b64 vcc, s[42:43], vcc
	s_mov_b64 exec, vcc
	s_cbranch_execz .LBB4_149
; %bb.148:
	ds_read_b32 v12, v8 offset:7936
	s_waitcnt lgkmcnt(0)
	v_fma_f32 v12, v10, v12, 0
.LBB4_149:
	s_or_b64 exec, exec, s[42:43]
	s_waitcnt lgkmcnt(0)
	ds_bpermute_b32 v13, v3, v12
	v_cmp_eq_u32_e32 vcc, 31, v11
	s_waitcnt lgkmcnt(0)
	v_add_f32_e32 v12, v12, v13
	ds_bpermute_b32 v13, v4, v12
	s_waitcnt lgkmcnt(0)
	v_add_f32_e32 v12, v12, v13
	ds_bpermute_b32 v13, v5, v12
	;; [unrolled: 3-line block ×4, first 2 shown]
	s_mov_b64 s[42:43], exec
	v_writelane_b32 v18, vcc_lo, 42
	v_writelane_b32 v18, vcc_hi, 43
	s_and_b64 vcc, s[42:43], vcc
	s_mov_b64 exec, vcc
	s_cbranch_execz .LBB4_151
; %bb.150:
	v_mov_b32_e32 v11, 0
	ds_read_b32 v11, v11 offset:8060
	s_waitcnt lgkmcnt(1)
	v_add_f32_e32 v12, v12, v13
	v_sub_f32_e32 v10, v10, v12
	s_waitcnt lgkmcnt(0)
	v_div_scale_f32 v12, vcc, v11, v11, v10
	v_rcp_f32_e32 v13, v12
	v_div_scale_f32 v14, vcc, v10, v11, v10
	v_fma_f32 v15, -v12, v13, 1.0
	v_fmac_f32_e32 v13, v15, v13
	v_mul_f32_e32 v15, v14, v13
	v_fma_f32 v16, -v12, v15, v14
	v_fmac_f32_e32 v15, v16, v13
	v_fma_f32 v12, -v12, v15, v14
	v_div_fmas_f32 v12, v12, v13, v15
	v_div_fixup_f32 v10, v12, v11, v10
.LBB4_151:
	s_or_b64 exec, exec, s[42:43]
	ds_read_b32 v11, v8 offset:8192
	s_waitcnt lgkmcnt(0)
	v_mul_f32_e32 v12, v10, v11
	ds_bpermute_b32 v12, v3, v12
	s_waitcnt lgkmcnt(0)
	v_fmac_f32_e32 v12, v10, v11
	ds_bpermute_b32 v11, v4, v12
	s_waitcnt lgkmcnt(0)
	v_add_f32_e32 v11, v12, v11
	ds_bpermute_b32 v12, v5, v11
	s_waitcnt lgkmcnt(0)
	v_add_f32_e32 v11, v11, v12
	;; [unrolled: 3-line block ×3, first 2 shown]
	ds_bpermute_b32 v12, v7, v11
	s_and_saveexec_b64 s[42:43], s[6:7]
	s_cbranch_execz .LBB4_153
; %bb.152:
	v_mov_b32_e32 v13, 0
	ds_read_b32 v13, v13 offset:8320
	s_waitcnt lgkmcnt(1)
	v_add_f32_e32 v11, v11, v12
	v_sub_f32_e32 v9, v9, v11
	s_waitcnt lgkmcnt(0)
	v_div_scale_f32 v11, vcc, v13, v13, v9
	v_rcp_f32_e32 v12, v11
	v_div_scale_f32 v14, vcc, v9, v13, v9
	v_fma_f32 v15, -v11, v12, 1.0
	v_fmac_f32_e32 v12, v15, v12
	v_mul_f32_e32 v15, v14, v12
	v_fma_f32 v16, -v11, v15, v14
	v_fmac_f32_e32 v15, v16, v12
	v_fma_f32 v11, -v11, v15, v14
	v_div_fmas_f32 v11, v11, v12, v15
	v_div_fixup_f32 v9, v11, v13, v9
.LBB4_153:
	s_or_b64 exec, exec, s[42:43]
	v_mov_b32_e32 v11, 0
	s_waitcnt lgkmcnt(0)
	ds_read_b32 v12, v8 offset:8448
	ds_read_b32 v13, v11 offset:8576
	s_waitcnt lgkmcnt(1)
	v_mul_f32_e32 v12, v10, v12
	s_waitcnt lgkmcnt(0)
	v_fma_f32 v13, v9, v13, v12
	v_cndmask_b32_e64 v12, v12, v13, s[6:7]
	ds_bpermute_b32 v13, v3, v12
	s_waitcnt lgkmcnt(0)
	v_add_f32_e32 v12, v12, v13
	ds_bpermute_b32 v13, v4, v12
	s_waitcnt lgkmcnt(0)
	v_add_f32_e32 v12, v12, v13
	;; [unrolled: 3-line block ×4, first 2 shown]
	ds_bpermute_b32 v13, v7, v12
	s_mov_b64 s[6:7], exec
	v_readlane_b32 s42, v18, 8
	v_readlane_b32 s43, v18, 9
	s_and_b64 s[42:43], s[6:7], s[42:43]
	s_mov_b64 exec, s[42:43]
	s_cbranch_execz .LBB4_155
; %bb.154:
	ds_read_b32 v11, v11 offset:8580
	s_waitcnt lgkmcnt(1)
	v_add_f32_e32 v12, v12, v13
	v_sub_f32_e32 v9, v9, v12
	s_waitcnt lgkmcnt(0)
	v_div_scale_f32 v12, s[42:43], v11, v11, v9
	v_rcp_f32_e32 v13, v12
	v_div_scale_f32 v14, vcc, v9, v11, v9
	v_fma_f32 v15, -v12, v13, 1.0
	v_fmac_f32_e32 v13, v15, v13
	v_mul_f32_e32 v15, v14, v13
	v_fma_f32 v16, -v12, v15, v14
	v_fmac_f32_e32 v15, v16, v13
	v_fma_f32 v12, -v12, v15, v14
	v_div_fmas_f32 v12, v12, v13, v15
	v_div_fixup_f32 v9, v12, v11, v9
.LBB4_155:
	s_or_b64 exec, exec, s[6:7]
	ds_read_b32 v11, v8 offset:8704
	s_waitcnt lgkmcnt(0)
	v_mul_f32_e32 v11, v10, v11
	s_mov_b64 s[6:7], exec
	v_readlane_b32 s42, v18, 10
	v_readlane_b32 s43, v18, 11
	s_and_b64 s[42:43], s[6:7], s[42:43]
	s_mov_b64 exec, s[42:43]
	s_cbranch_execz .LBB4_157
; %bb.156:
	ds_read_b32 v12, v8 offset:8832
	s_waitcnt lgkmcnt(0)
	v_fmac_f32_e32 v11, v9, v12
.LBB4_157:
	s_or_b64 exec, exec, s[6:7]
	ds_bpermute_b32 v12, v3, v11
	s_waitcnt lgkmcnt(0)
	v_add_f32_e32 v11, v11, v12
	ds_bpermute_b32 v12, v4, v11
	s_waitcnt lgkmcnt(0)
	v_add_f32_e32 v11, v11, v12
	ds_bpermute_b32 v12, v5, v11
	s_waitcnt lgkmcnt(0)
	v_add_f32_e32 v11, v11, v12
	ds_bpermute_b32 v12, v6, v11
	s_waitcnt lgkmcnt(0)
	v_add_f32_e32 v11, v11, v12
	ds_bpermute_b32 v12, v7, v11
	s_and_saveexec_b64 s[6:7], s[74:75]
	s_cbranch_execz .LBB4_159
; %bb.158:
	v_mov_b32_e32 v13, 0
	ds_read_b32 v13, v13 offset:8840
	s_waitcnt lgkmcnt(1)
	v_add_f32_e32 v11, v11, v12
	v_sub_f32_e32 v9, v9, v11
	s_waitcnt lgkmcnt(0)
	v_div_scale_f32 v11, s[42:43], v13, v13, v9
	v_rcp_f32_e32 v12, v11
	v_div_scale_f32 v14, vcc, v9, v13, v9
	v_fma_f32 v15, -v11, v12, 1.0
	v_fmac_f32_e32 v12, v15, v12
	v_mul_f32_e32 v15, v14, v12
	v_fma_f32 v16, -v11, v15, v14
	v_fmac_f32_e32 v15, v16, v12
	v_fma_f32 v11, -v11, v15, v14
	v_div_fmas_f32 v11, v11, v12, v15
	v_div_fixup_f32 v9, v11, v13, v9
.LBB4_159:
	s_or_b64 exec, exec, s[6:7]
	ds_read_b32 v11, v8 offset:8960
	s_waitcnt lgkmcnt(0)
	v_mul_f32_e32 v11, v10, v11
	s_mov_b64 s[6:7], exec
	v_readlane_b32 s42, v18, 12
	v_readlane_b32 s43, v18, 13
	s_and_b64 s[42:43], s[6:7], s[42:43]
	s_mov_b64 exec, s[42:43]
	s_cbranch_execz .LBB4_161
; %bb.160:
	ds_read_b32 v12, v8 offset:9088
	s_waitcnt lgkmcnt(0)
	v_fmac_f32_e32 v11, v9, v12
.LBB4_161:
	s_or_b64 exec, exec, s[6:7]
	ds_bpermute_b32 v12, v3, v11
	s_waitcnt lgkmcnt(0)
	v_add_f32_e32 v11, v11, v12
	ds_bpermute_b32 v12, v4, v11
	s_waitcnt lgkmcnt(0)
	v_add_f32_e32 v11, v11, v12
	ds_bpermute_b32 v12, v5, v11
	s_waitcnt lgkmcnt(0)
	v_add_f32_e32 v11, v11, v12
	ds_bpermute_b32 v12, v6, v11
	s_waitcnt lgkmcnt(0)
	v_add_f32_e32 v11, v11, v12
	ds_bpermute_b32 v12, v7, v11
	s_and_saveexec_b64 s[6:7], s[76:77]
	s_cbranch_execz .LBB4_163
; %bb.162:
	v_mov_b32_e32 v13, 0
	ds_read_b32 v13, v13 offset:9100
	s_waitcnt lgkmcnt(1)
	v_add_f32_e32 v11, v11, v12
	v_sub_f32_e32 v9, v9, v11
	s_waitcnt lgkmcnt(0)
	v_div_scale_f32 v11, s[42:43], v13, v13, v9
	v_rcp_f32_e32 v12, v11
	v_div_scale_f32 v14, vcc, v9, v13, v9
	v_fma_f32 v15, -v11, v12, 1.0
	v_fmac_f32_e32 v12, v15, v12
	v_mul_f32_e32 v15, v14, v12
	v_fma_f32 v16, -v11, v15, v14
	v_fmac_f32_e32 v15, v16, v12
	v_fma_f32 v11, -v11, v15, v14
	v_div_fmas_f32 v11, v11, v12, v15
	v_div_fixup_f32 v9, v11, v13, v9
.LBB4_163:
	;; [unrolled: 50-line block ×15, first 2 shown]
	s_or_b64 exec, exec, s[0:1]
	ds_read_b32 v11, v8 offset:12544
	s_waitcnt lgkmcnt(0)
	v_mul_f32_e32 v11, v10, v11
	s_and_saveexec_b64 s[0:1], s[46:47]
	s_cbranch_execz .LBB4_217
; %bb.216:
	ds_read_b32 v12, v8 offset:12672
	s_waitcnt lgkmcnt(0)
	v_fmac_f32_e32 v11, v9, v12
.LBB4_217:
	s_or_b64 exec, exec, s[0:1]
	ds_bpermute_b32 v12, v3, v11
	s_waitcnt lgkmcnt(0)
	v_add_f32_e32 v11, v11, v12
	ds_bpermute_b32 v12, v4, v11
	s_waitcnt lgkmcnt(0)
	v_add_f32_e32 v11, v11, v12
	ds_bpermute_b32 v12, v5, v11
	s_waitcnt lgkmcnt(0)
	v_add_f32_e32 v11, v11, v12
	ds_bpermute_b32 v12, v6, v11
	s_waitcnt lgkmcnt(0)
	v_add_f32_e32 v11, v11, v12
	ds_bpermute_b32 v12, v7, v11
	s_and_saveexec_b64 s[0:1], s[12:13]
	s_cbranch_execz .LBB4_219
; %bb.218:
	v_mov_b32_e32 v13, 0
	ds_read_b32 v13, v13 offset:12740
	s_waitcnt lgkmcnt(1)
	v_add_f32_e32 v11, v11, v12
	v_sub_f32_e32 v9, v9, v11
	s_waitcnt lgkmcnt(0)
	v_div_scale_f32 v11, s[2:3], v13, v13, v9
	v_rcp_f32_e32 v12, v11
	v_div_scale_f32 v14, vcc, v9, v13, v9
	v_fma_f32 v15, -v11, v12, 1.0
	v_fmac_f32_e32 v12, v15, v12
	v_mul_f32_e32 v15, v14, v12
	v_fma_f32 v16, -v11, v15, v14
	v_fmac_f32_e32 v15, v16, v12
	v_fma_f32 v11, -v11, v15, v14
	v_div_fmas_f32 v11, v11, v12, v15
	v_div_fixup_f32 v9, v11, v13, v9
.LBB4_219:
	s_or_b64 exec, exec, s[0:1]
	ds_read_b32 v11, v8 offset:12800
	s_waitcnt lgkmcnt(0)
	v_mul_f32_e32 v11, v10, v11
	s_and_saveexec_b64 s[0:1], s[48:49]
	s_cbranch_execz .LBB4_221
; %bb.220:
	ds_read_b32 v12, v8 offset:12928
	s_waitcnt lgkmcnt(0)
	v_fmac_f32_e32 v11, v9, v12
.LBB4_221:
	s_or_b64 exec, exec, s[0:1]
	ds_bpermute_b32 v12, v3, v11
	s_waitcnt lgkmcnt(0)
	v_add_f32_e32 v11, v11, v12
	ds_bpermute_b32 v12, v4, v11
	s_waitcnt lgkmcnt(0)
	v_add_f32_e32 v11, v11, v12
	ds_bpermute_b32 v12, v5, v11
	s_waitcnt lgkmcnt(0)
	v_add_f32_e32 v11, v11, v12
	ds_bpermute_b32 v12, v6, v11
	s_waitcnt lgkmcnt(0)
	v_add_f32_e32 v11, v11, v12
	ds_bpermute_b32 v12, v7, v11
	s_and_saveexec_b64 s[0:1], s[14:15]
	s_cbranch_execz .LBB4_223
; %bb.222:
	v_mov_b32_e32 v13, 0
	ds_read_b32 v13, v13 offset:13000
	s_waitcnt lgkmcnt(1)
	v_add_f32_e32 v11, v11, v12
	v_sub_f32_e32 v9, v9, v11
	s_waitcnt lgkmcnt(0)
	v_div_scale_f32 v11, s[2:3], v13, v13, v9
	v_rcp_f32_e32 v12, v11
	v_div_scale_f32 v14, vcc, v9, v13, v9
	v_fma_f32 v15, -v11, v12, 1.0
	v_fmac_f32_e32 v12, v15, v12
	v_mul_f32_e32 v15, v14, v12
	v_fma_f32 v16, -v11, v15, v14
	v_fmac_f32_e32 v15, v16, v12
	v_fma_f32 v11, -v11, v15, v14
	v_div_fmas_f32 v11, v11, v12, v15
	v_div_fixup_f32 v9, v11, v13, v9
.LBB4_223:
	;; [unrolled: 46-line block ×14, first 2 shown]
	s_or_b64 exec, exec, s[0:1]
	ds_read_b32 v11, v8 offset:16128
	s_load_dwordx2 s[0:1], s[4:5], 0x10
	s_waitcnt lgkmcnt(0)
	v_mul_f32_e32 v11, v10, v11
	s_mov_b64 s[2:3], exec
	v_readlane_b32 s4, v18, 40
	v_readlane_b32 s5, v18, 41
	s_and_b64 s[4:5], s[2:3], s[4:5]
	s_mov_b64 exec, s[4:5]
	s_cbranch_execz .LBB4_273
; %bb.272:
	ds_read_b32 v8, v8 offset:16256
	s_waitcnt lgkmcnt(0)
	v_fmac_f32_e32 v11, v9, v8
.LBB4_273:
	s_or_b64 exec, exec, s[2:3]
	ds_bpermute_b32 v3, v3, v11
	s_waitcnt lgkmcnt(0)
	v_add_f32_e32 v3, v11, v3
	ds_bpermute_b32 v4, v4, v3
	s_waitcnt lgkmcnt(0)
	v_add_f32_e32 v3, v3, v4
	;; [unrolled: 3-line block ×4, first 2 shown]
	ds_bpermute_b32 v4, v7, v3
	s_mov_b64 s[2:3], exec
	v_readlane_b32 s4, v18, 42
	v_readlane_b32 s5, v18, 43
	s_and_b64 s[4:5], s[2:3], s[4:5]
	s_mov_b64 exec, s[4:5]
	s_cbranch_execz .LBB4_275
; %bb.274:
	v_mov_b32_e32 v5, 0
	ds_read_b32 v5, v5 offset:16380
	s_waitcnt lgkmcnt(1)
	v_add_f32_e32 v3, v3, v4
	v_sub_f32_e32 v3, v9, v3
	s_waitcnt lgkmcnt(0)
	v_div_scale_f32 v4, s[4:5], v5, v5, v3
	v_rcp_f32_e32 v6, v4
	v_div_scale_f32 v7, vcc, v3, v5, v3
	v_fma_f32 v8, -v4, v6, 1.0
	v_fmac_f32_e32 v6, v8, v6
	v_mul_f32_e32 v8, v7, v6
	v_fma_f32 v9, -v4, v8, v7
	v_fmac_f32_e32 v8, v9, v6
	v_fma_f32 v4, -v4, v8, v7
	v_div_fmas_f32 v4, v4, v6, v8
	v_div_fixup_f32 v9, v4, v5, v3
.LBB4_275:
	s_or_b64 exec, exec, s[2:3]
	v_readlane_b32 s4, v18, 0
	v_readlane_b32 s5, v18, 1
	;; [unrolled: 1-line block ×4, first 2 shown]
	s_mul_i32 s2, s44, s5
	s_mul_hi_u32 s3, s44, s4
	s_add_i32 s3, s3, s2
	s_mul_i32 s2, s44, s4
	s_mul_i32 s4, s33, s7
	s_mul_hi_u32 s5, s33, s6
	s_add_i32 s5, s5, s4
	s_lshl_b64 s[2:3], s[2:3], 2
	s_mul_i32 s4, s33, s6
	s_add_u32 s2, s0, s2
	s_addc_u32 s3, s1, s3
	s_lshl_b64 s[0:1], s[4:5], 2
	s_add_u32 s0, s2, s0
	s_addc_u32 s1, s3, s1
	s_mov_b64 s[2:3], exec
	v_readlane_b32 s4, v18, 4
	v_readlane_b32 s5, v18, 5
	s_and_b64 s[4:5], s[2:3], s[4:5]
	s_mov_b64 exec, s[4:5]
	s_cbranch_execz .LBB4_277
; %bb.276:
	v_readlane_b32 s4, v18, 6
	v_readlane_b32 s5, v18, 7
	v_cndmask_b32_e64 v3, v9, v10, s[4:5]
	v_add_lshl_u32 v0, v0, v1, 2
	global_store_dword v0, v3, s[0:1]
.LBB4_277:
	s_or_b64 exec, exec, s[2:3]
	v_readlane_b32 s2, v18, 6
	v_readlane_b32 s3, v18, 7
	s_and_b64 exec, exec, s[2:3]
	s_cbranch_execz .LBB4_279
; %bb.278:
	v_add_lshl_u32 v0, v2, v1, 2
	global_store_dword v0, v9, s[0:1]
.LBB4_279:
	s_endpgm
	.section	.rodata,"a",@progbits
	.p2align	6, 0x0
	.amdhsa_kernel _ZL18solve_tri_f32_fastILi64ELi12EEvPKfS1_Pf15HIP_vector_typeIjLj3EEmmmmmmii
		.amdhsa_group_segment_fixed_size 16384
		.amdhsa_private_segment_fixed_size 0
		.amdhsa_kernarg_size 352
		.amdhsa_user_sgpr_count 6
		.amdhsa_user_sgpr_private_segment_buffer 1
		.amdhsa_user_sgpr_dispatch_ptr 0
		.amdhsa_user_sgpr_queue_ptr 0
		.amdhsa_user_sgpr_kernarg_segment_ptr 1
		.amdhsa_user_sgpr_dispatch_id 0
		.amdhsa_user_sgpr_flat_scratch_init 0
		.amdhsa_user_sgpr_kernarg_preload_length 0
		.amdhsa_user_sgpr_kernarg_preload_offset 0
		.amdhsa_user_sgpr_private_segment_size 0
		.amdhsa_uses_dynamic_stack 0
		.amdhsa_system_sgpr_private_segment_wavefront_offset 0
		.amdhsa_system_sgpr_workgroup_id_x 1
		.amdhsa_system_sgpr_workgroup_id_y 0
		.amdhsa_system_sgpr_workgroup_id_z 0
		.amdhsa_system_sgpr_workgroup_info 0
		.amdhsa_system_vgpr_workitem_id 1
		.amdhsa_next_free_vgpr 19
		.amdhsa_next_free_sgpr 96
		.amdhsa_accum_offset 20
		.amdhsa_reserve_vcc 1
		.amdhsa_reserve_flat_scratch 0
		.amdhsa_float_round_mode_32 0
		.amdhsa_float_round_mode_16_64 0
		.amdhsa_float_denorm_mode_32 3
		.amdhsa_float_denorm_mode_16_64 3
		.amdhsa_dx10_clamp 1
		.amdhsa_ieee_mode 1
		.amdhsa_fp16_overflow 0
		.amdhsa_tg_split 0
		.amdhsa_exception_fp_ieee_invalid_op 0
		.amdhsa_exception_fp_denorm_src 0
		.amdhsa_exception_fp_ieee_div_zero 0
		.amdhsa_exception_fp_ieee_overflow 0
		.amdhsa_exception_fp_ieee_underflow 0
		.amdhsa_exception_fp_ieee_inexact 0
		.amdhsa_exception_int_div_zero 0
	.end_amdhsa_kernel
	.section	.text._ZL18solve_tri_f32_fastILi64ELi12EEvPKfS1_Pf15HIP_vector_typeIjLj3EEmmmmmmii,"axG",@progbits,_ZL18solve_tri_f32_fastILi64ELi12EEvPKfS1_Pf15HIP_vector_typeIjLj3EEmmmmmmii,comdat
.Lfunc_end4:
	.size	_ZL18solve_tri_f32_fastILi64ELi12EEvPKfS1_Pf15HIP_vector_typeIjLj3EEmmmmmmii, .Lfunc_end4-_ZL18solve_tri_f32_fastILi64ELi12EEvPKfS1_Pf15HIP_vector_typeIjLj3EEmmmmmmii
                                        ; -- End function
	.section	.AMDGPU.csdata,"",@progbits
; Kernel info:
; codeLenInByte = 16996
; NumSgprs: 100
; NumVgprs: 19
; NumAgprs: 0
; TotalNumVgprs: 19
; ScratchSize: 0
; MemoryBound: 0
; FloatMode: 240
; IeeeMode: 1
; LDSByteSize: 16384 bytes/workgroup (compile time only)
; SGPRBlocks: 12
; VGPRBlocks: 2
; NumSGPRsForWavesPerEU: 100
; NumVGPRsForWavesPerEU: 19
; AccumOffset: 20
; Occupancy: 8
; WaveLimiterHint : 0
; COMPUTE_PGM_RSRC2:SCRATCH_EN: 0
; COMPUTE_PGM_RSRC2:USER_SGPR: 6
; COMPUTE_PGM_RSRC2:TRAP_HANDLER: 0
; COMPUTE_PGM_RSRC2:TGID_X_EN: 1
; COMPUTE_PGM_RSRC2:TGID_Y_EN: 0
; COMPUTE_PGM_RSRC2:TGID_Z_EN: 0
; COMPUTE_PGM_RSRC2:TIDIG_COMP_CNT: 1
; COMPUTE_PGM_RSRC3_GFX90A:ACCUM_OFFSET: 4
; COMPUTE_PGM_RSRC3_GFX90A:TG_SPLIT: 0
	.section	.text._ZL18solve_tri_f32_fastILi64ELi10EEvPKfS1_Pf15HIP_vector_typeIjLj3EEmmmmmmii,"axG",@progbits,_ZL18solve_tri_f32_fastILi64ELi10EEvPKfS1_Pf15HIP_vector_typeIjLj3EEmmmmmmii,comdat
	.globl	_ZL18solve_tri_f32_fastILi64ELi10EEvPKfS1_Pf15HIP_vector_typeIjLj3EEmmmmmmii ; -- Begin function _ZL18solve_tri_f32_fastILi64ELi10EEvPKfS1_Pf15HIP_vector_typeIjLj3EEmmmmmmii
	.p2align	8
	.type	_ZL18solve_tri_f32_fastILi64ELi10EEvPKfS1_Pf15HIP_vector_typeIjLj3EEmmmmmmii,@function
_ZL18solve_tri_f32_fastILi64ELi10EEvPKfS1_Pf15HIP_vector_typeIjLj3EEmmmmmmii: ; @_ZL18solve_tri_f32_fastILi64ELi10EEvPKfS1_Pf15HIP_vector_typeIjLj3EEmmmmmmii
; %bb.0:
	v_bfe_u32 v1, v0, 10, 10
	v_cmp_gt_u32_e32 vcc, 10, v1
	s_and_saveexec_b64 s[0:1], vcc
	s_cbranch_execz .LBB5_283
; %bb.1:
	s_load_dwordx4 s[0:3], s[4:5], 0x18
	s_load_dwordx2 s[16:17], s[4:5], 0x0
	s_load_dwordx8 s[8:15], s[4:5], 0x28
	v_and_b32_e32 v11, 0x3ff, v0
	s_waitcnt lgkmcnt(0)
	s_mul_hi_u32 s0, s0, s6
	s_add_i32 s0, s6, s0
	s_lshr_b32 s33, s0, s1
	s_mul_i32 s0, s33, s2
	s_sub_i32 s44, s6, s0
	s_mul_i32 s0, s44, s9
	s_mul_hi_u32 s1, s44, s8
	s_add_i32 s1, s1, s0
	s_mul_i32 s0, s44, s8
	s_lshl_b64 s[0:1], s[0:1], 2
	s_add_u32 s2, s16, s0
	s_load_dword s6, s[4:5], 0x6c
	s_addc_u32 s3, s17, s1
	s_mul_i32 s0, s33, s11
	s_mul_hi_u32 s1, s33, s10
	s_add_i32 s1, s1, s0
	s_mul_i32 s0, s33, s10
	s_lshl_b64 s[0:1], s[0:1], 2
	s_add_u32 s0, s2, s0
	s_addc_u32 s1, s3, s1
	s_waitcnt lgkmcnt(0)
	s_and_b32 s2, s6, 0xffff
	v_mad_u32_u24 v2, v1, s2, v11
	s_movk_i32 s2, 0x1000
	v_cmp_gt_u32_e32 vcc, s2, v2
	v_lshlrev_b32_e32 v0, 2, v2
	s_and_saveexec_b64 s[2:3], vcc
	s_cbranch_execz .LBB5_3
; %bb.2:
	global_load_dword v3, v0, s[0:1]
	s_waitcnt vmcnt(0)
	ds_write_b32 v0, v3
.LBB5_3:
	s_or_b64 exec, exec, s[2:3]
	s_movk_i32 s2, 0xec0
	v_cmp_gt_u32_e32 vcc, s2, v2
	s_and_saveexec_b64 s[2:3], vcc
	s_cbranch_execz .LBB5_5
; %bb.4:
	global_load_dword v3, v0, s[0:1] offset:1280
	s_waitcnt vmcnt(0)
	ds_write_b32 v0, v3 offset:1280
.LBB5_5:
	s_or_b64 exec, exec, s[2:3]
	s_movk_i32 s2, 0xd80
	v_cmp_gt_u32_e32 vcc, s2, v2
	s_and_saveexec_b64 s[2:3], vcc
	s_cbranch_execz .LBB5_7
; %bb.6:
	global_load_dword v3, v0, s[0:1] offset:2560
	s_waitcnt vmcnt(0)
	ds_write_b32 v0, v3 offset:2560
.LBB5_7:
	;; [unrolled: 10-line block ×3, first 2 shown]
	s_or_b64 exec, exec, s[2:3]
	s_movk_i32 s2, 0xb00
	v_cmp_gt_u32_e32 vcc, s2, v2
	s_and_saveexec_b64 s[2:3], vcc
	s_cbranch_execz .LBB5_11
; %bb.10:
	v_add_u32_e32 v3, 0x1400, v0
	global_load_dword v3, v3, s[0:1]
	s_waitcnt vmcnt(0)
	ds_write_b32 v0, v3 offset:5120
.LBB5_11:
	s_or_b64 exec, exec, s[2:3]
	s_movk_i32 s2, 0x9c0
	v_cmp_gt_u32_e32 vcc, s2, v2
	s_and_saveexec_b64 s[2:3], vcc
	s_cbranch_execz .LBB5_13
; %bb.12:
	v_add_u32_e32 v3, 0x1900, v0
	global_load_dword v3, v3, s[0:1]
	s_waitcnt vmcnt(0)
	ds_write_b32 v0, v3 offset:6400
.LBB5_13:
	;; [unrolled: 11-line block ×6, first 2 shown]
	s_or_b64 exec, exec, s[2:3]
	s_load_dwordx4 s[8:11], s[4:5], 0x48
                                        ; implicit-def: $vgpr18 : SGPR spill to VGPR lane
	s_movk_i32 s2, 0x380
	v_cmp_gt_u32_e32 vcc, s2, v2
	s_waitcnt lgkmcnt(0)
	v_writelane_b32 v18, s8, 0
	v_writelane_b32 v18, s9, 1
	;; [unrolled: 1-line block ×4, first 2 shown]
	s_and_saveexec_b64 s[2:3], vcc
	s_cbranch_execz .LBB5_23
; %bb.22:
	v_add_u32_e32 v3, 0x3200, v0
	global_load_dword v3, v3, s[0:1]
	s_waitcnt vmcnt(0)
	ds_write_b32 v0, v3 offset:12800
.LBB5_23:
	s_or_b64 exec, exec, s[2:3]
	s_load_dwordx2 s[2:3], s[4:5], 0x8
	s_movk_i32 s6, 0x240
	v_cmp_gt_u32_e32 vcc, s6, v2
	s_and_saveexec_b64 s[6:7], vcc
	s_cbranch_execz .LBB5_25
; %bb.24:
	v_add_u32_e32 v3, 0x3700, v0
	global_load_dword v3, v3, s[0:1]
	s_waitcnt vmcnt(0)
	ds_write_b32 v0, v3 offset:14080
.LBB5_25:
	s_or_b64 exec, exec, s[6:7]
	s_movk_i32 s6, 0x100
	v_cmp_gt_u32_e32 vcc, s6, v2
	s_and_saveexec_b64 s[6:7], vcc
	s_cbranch_execz .LBB5_27
; %bb.26:
	v_or_b32_e32 v2, 0x3c00, v0
	global_load_dword v2, v2, s[0:1]
	s_waitcnt vmcnt(0)
	ds_write_b32 v0, v2 offset:15360
.LBB5_27:
	s_or_b64 exec, exec, s[6:7]
	s_mul_i32 s0, s44, s13
	s_mul_hi_u32 s1, s44, s12
	s_add_i32 s1, s1, s0
	s_mul_i32 s0, s44, s12
	s_mul_i32 s6, s33, s15
	s_mul_hi_u32 s7, s33, s14
	s_add_i32 s7, s7, s6
	s_lshl_b64 s[0:1], s[0:1], 2
	s_mul_i32 s6, s33, s14
	s_waitcnt lgkmcnt(0)
	s_add_u32 s2, s2, s0
	s_addc_u32 s3, s3, s1
	s_lshl_b64 s[0:1], s[6:7], 2
	s_add_u32 s0, s2, s0
	s_addc_u32 s1, s3, s1
	v_mov_b32_e32 v9, 0
	v_mul_u32_u24_e32 v0, 10, v11
	v_mov_b32_e32 v10, 0
	s_barrier
	v_cmp_gt_u32_e64 s[6:7], 64, v11
	s_mov_b64 s[2:3], exec
	v_writelane_b32 v18, s6, 4
	v_writelane_b32 v18, s7, 5
	s_and_b64 s[6:7], s[2:3], s[6:7]
	s_mov_b64 exec, s[6:7]
	s_cbranch_execz .LBB5_29
; %bb.28:
	v_add_lshl_u32 v2, v0, v1, 2
	global_load_dword v10, v2, s[0:1]
.LBB5_29:
	s_or_b64 exec, exec, s[2:3]
	v_add_u32_e32 v2, 32, v11
	v_mul_u32_u24_e32 v2, 10, v2
	v_cmp_gt_u32_e64 s[6:7], 32, v11
	s_mov_b64 s[2:3], exec
	v_writelane_b32 v18, s6, 6
	v_writelane_b32 v18, s7, 7
	s_and_b64 s[6:7], s[2:3], s[6:7]
	s_mov_b64 exec, s[6:7]
	s_cbranch_execz .LBB5_31
; %bb.30:
	v_add_lshl_u32 v3, v2, v1, 2
	global_load_dword v9, v3, s[0:1]
.LBB5_31:
	s_or_b64 exec, exec, s[2:3]
	v_mbcnt_lo_u32_b32 v3, -1, 0
	v_mbcnt_hi_u32_b32 v7, -1, v3
	v_and_b32_e32 v3, 0x60, v7
	v_add_u32_e32 v12, 32, v3
	v_xor_b32_e32 v3, 16, v7
	v_cmp_lt_i32_e32 vcc, v3, v12
	v_cndmask_b32_e32 v3, v7, v3, vcc
	v_mov_b32_e32 v8, 0
	v_lshlrev_b32_e32 v3, 2, v3
	ds_bpermute_b32 v5, v3, v8
	v_xor_b32_e32 v4, 8, v7
	v_cmp_lt_i32_e32 vcc, v4, v12
	v_cndmask_b32_e32 v4, v7, v4, vcc
	v_lshlrev_b32_e32 v4, 2, v4
	s_waitcnt lgkmcnt(0)
	v_add_f32_e32 v6, 0, v5
	ds_bpermute_b32 v13, v4, v6
	v_xor_b32_e32 v5, 4, v7
	v_cmp_lt_i32_e32 vcc, v5, v12
	v_cndmask_b32_e32 v5, v7, v5, vcc
	v_lshlrev_b32_e32 v5, 2, v5
	s_waitcnt lgkmcnt(0)
	v_add_f32_e32 v13, v6, v13
	;; [unrolled: 7-line block ×4, first 2 shown]
	ds_bpermute_b32 v13, v7, v12
	v_cmp_eq_u32_e64 s[6:7], 0, v11
	s_and_saveexec_b64 s[0:1], s[6:7]
	s_cbranch_execz .LBB5_33
; %bb.32:
	ds_read_b32 v14, v8
	s_waitcnt lgkmcnt(1)
	v_add_f32_e32 v12, v12, v13
	s_waitcnt vmcnt(0)
	v_sub_f32_e32 v10, v10, v12
	s_waitcnt lgkmcnt(0)
	v_div_scale_f32 v12, s[2:3], v14, v14, v10
	v_rcp_f32_e32 v13, v12
	v_div_scale_f32 v15, vcc, v10, v14, v10
	v_fma_f32 v16, -v12, v13, 1.0
	v_fmac_f32_e32 v13, v16, v13
	v_mul_f32_e32 v16, v15, v13
	v_fma_f32 v17, -v12, v16, v15
	v_fmac_f32_e32 v16, v17, v13
	v_fma_f32 v12, -v12, v16, v15
	v_div_fmas_f32 v12, v12, v13, v16
	v_div_fixup_f32 v10, v12, v14, v10
.LBB5_33:
	s_or_b64 exec, exec, s[0:1]
	ds_read_b32 v8, v8 offset:256
	v_cmp_eq_u32_e64 s[2:3], 1, v11
	s_waitcnt vmcnt(0) lgkmcnt(0)
	v_fma_f32 v8, v10, v8, 0
	v_cndmask_b32_e64 v8, 0, v8, s[6:7]
	ds_bpermute_b32 v12, v3, v8
	s_waitcnt lgkmcnt(0)
	v_add_f32_e32 v8, v8, v12
	ds_bpermute_b32 v12, v4, v8
	s_waitcnt lgkmcnt(0)
	v_add_f32_e32 v8, v8, v12
	;; [unrolled: 3-line block ×4, first 2 shown]
	ds_bpermute_b32 v12, v7, v8
	s_mov_b64 s[0:1], exec
	v_writelane_b32 v18, s2, 8
	v_writelane_b32 v18, s3, 9
	s_and_b64 s[2:3], s[0:1], s[2:3]
	s_mov_b64 exec, s[2:3]
	s_cbranch_execz .LBB5_35
; %bb.34:
	v_mov_b32_e32 v13, 0
	ds_read_b32 v13, v13 offset:260
	s_waitcnt lgkmcnt(1)
	v_add_f32_e32 v8, v8, v12
	v_sub_f32_e32 v8, v10, v8
	s_waitcnt lgkmcnt(0)
	v_div_scale_f32 v10, s[2:3], v13, v13, v8
	v_rcp_f32_e32 v12, v10
	v_div_scale_f32 v14, vcc, v8, v13, v8
	v_fma_f32 v15, -v10, v12, 1.0
	v_fmac_f32_e32 v12, v15, v12
	v_mul_f32_e32 v15, v14, v12
	v_fma_f32 v16, -v10, v15, v14
	v_fmac_f32_e32 v15, v16, v12
	v_fma_f32 v10, -v10, v15, v14
	v_div_fmas_f32 v10, v10, v12, v15
	v_div_fixup_f32 v10, v10, v13, v8
.LBB5_35:
	s_or_b64 exec, exec, s[0:1]
	s_waitcnt lgkmcnt(0)
	v_mov_b32_e32 v12, 0
	v_lshlrev_b32_e32 v8, 2, v11
	v_cmp_gt_u32_e64 s[2:3], 2, v11
	s_mov_b64 s[0:1], exec
	v_writelane_b32 v18, s2, 10
	v_writelane_b32 v18, s3, 11
	s_and_b64 s[2:3], s[0:1], s[2:3]
	s_mov_b64 exec, s[2:3]
	s_cbranch_execz .LBB5_37
; %bb.36:
	ds_read_b32 v12, v8 offset:512
	s_waitcnt lgkmcnt(0)
	v_fma_f32 v12, v10, v12, 0
.LBB5_37:
	s_or_b64 exec, exec, s[0:1]
	ds_bpermute_b32 v13, v3, v12
	v_cmp_eq_u32_e64 s[74:75], 2, v11
	s_waitcnt lgkmcnt(0)
	v_add_f32_e32 v12, v12, v13
	ds_bpermute_b32 v13, v4, v12
	s_waitcnt lgkmcnt(0)
	v_add_f32_e32 v12, v12, v13
	ds_bpermute_b32 v13, v5, v12
	s_waitcnt lgkmcnt(0)
	v_add_f32_e32 v12, v12, v13
	ds_bpermute_b32 v13, v6, v12
	s_waitcnt lgkmcnt(0)
	v_add_f32_e32 v12, v12, v13
	ds_bpermute_b32 v13, v7, v12
	s_and_saveexec_b64 s[0:1], s[74:75]
	s_cbranch_execz .LBB5_39
; %bb.38:
	v_mov_b32_e32 v14, 0
	ds_read_b32 v14, v14 offset:520
	s_waitcnt lgkmcnt(1)
	v_add_f32_e32 v12, v12, v13
	v_sub_f32_e32 v10, v10, v12
	s_waitcnt lgkmcnt(0)
	v_div_scale_f32 v12, s[2:3], v14, v14, v10
	v_rcp_f32_e32 v13, v12
	v_div_scale_f32 v15, vcc, v10, v14, v10
	v_fma_f32 v16, -v12, v13, 1.0
	v_fmac_f32_e32 v13, v16, v13
	v_mul_f32_e32 v16, v15, v13
	v_fma_f32 v17, -v12, v16, v15
	v_fmac_f32_e32 v16, v17, v13
	v_fma_f32 v12, -v12, v16, v15
	v_div_fmas_f32 v12, v12, v13, v16
	v_div_fixup_f32 v10, v12, v14, v10
.LBB5_39:
	s_or_b64 exec, exec, s[0:1]
	v_mov_b32_e32 v12, 0
	v_cmp_gt_u32_e64 s[2:3], 3, v11
	s_mov_b64 s[0:1], exec
	v_writelane_b32 v18, s2, 12
	v_writelane_b32 v18, s3, 13
	s_and_b64 s[2:3], s[0:1], s[2:3]
	s_mov_b64 exec, s[2:3]
	s_cbranch_execz .LBB5_41
; %bb.40:
	ds_read_b32 v12, v8 offset:768
	s_waitcnt lgkmcnt(0)
	v_fma_f32 v12, v10, v12, 0
.LBB5_41:
	s_or_b64 exec, exec, s[0:1]
	s_waitcnt lgkmcnt(0)
	ds_bpermute_b32 v13, v3, v12
	v_cmp_eq_u32_e64 s[76:77], 3, v11
	s_waitcnt lgkmcnt(0)
	v_add_f32_e32 v12, v12, v13
	ds_bpermute_b32 v13, v4, v12
	s_waitcnt lgkmcnt(0)
	v_add_f32_e32 v12, v12, v13
	ds_bpermute_b32 v13, v5, v12
	s_waitcnt lgkmcnt(0)
	v_add_f32_e32 v12, v12, v13
	ds_bpermute_b32 v13, v6, v12
	s_waitcnt lgkmcnt(0)
	v_add_f32_e32 v12, v12, v13
	ds_bpermute_b32 v13, v7, v12
	s_and_saveexec_b64 s[0:1], s[76:77]
	s_cbranch_execz .LBB5_43
; %bb.42:
	v_mov_b32_e32 v14, 0
	ds_read_b32 v14, v14 offset:780
	s_waitcnt lgkmcnt(1)
	v_add_f32_e32 v12, v12, v13
	v_sub_f32_e32 v10, v10, v12
	s_waitcnt lgkmcnt(0)
	v_div_scale_f32 v12, s[2:3], v14, v14, v10
	v_rcp_f32_e32 v13, v12
	v_div_scale_f32 v15, vcc, v10, v14, v10
	v_fma_f32 v16, -v12, v13, 1.0
	v_fmac_f32_e32 v13, v16, v13
	v_mul_f32_e32 v16, v15, v13
	v_fma_f32 v17, -v12, v16, v15
	v_fmac_f32_e32 v16, v17, v13
	v_fma_f32 v12, -v12, v16, v15
	v_div_fmas_f32 v12, v12, v13, v16
	v_div_fixup_f32 v10, v12, v14, v10
.LBB5_43:
	s_or_b64 exec, exec, s[0:1]
	v_mov_b32_e32 v12, 0
	v_cmp_gt_u32_e64 s[2:3], 4, v11
	s_mov_b64 s[0:1], exec
	v_writelane_b32 v18, s2, 14
	v_writelane_b32 v18, s3, 15
	s_and_b64 s[2:3], s[0:1], s[2:3]
	s_mov_b64 exec, s[2:3]
	s_cbranch_execz .LBB5_45
; %bb.44:
	ds_read_b32 v12, v8 offset:1024
	s_waitcnt lgkmcnt(0)
	v_fma_f32 v12, v10, v12, 0
.LBB5_45:
	s_or_b64 exec, exec, s[0:1]
	s_waitcnt lgkmcnt(0)
	;; [unrolled: 51-line block ×14, first 2 shown]
	ds_bpermute_b32 v13, v3, v12
	v_cmp_eq_u32_e64 s[10:11], 16, v11
	s_waitcnt lgkmcnt(0)
	v_add_f32_e32 v12, v12, v13
	ds_bpermute_b32 v13, v4, v12
	s_waitcnt lgkmcnt(0)
	v_add_f32_e32 v12, v12, v13
	ds_bpermute_b32 v13, v5, v12
	s_waitcnt lgkmcnt(0)
	v_add_f32_e32 v12, v12, v13
	ds_bpermute_b32 v13, v6, v12
	s_waitcnt lgkmcnt(0)
	v_add_f32_e32 v12, v12, v13
	ds_bpermute_b32 v13, v7, v12
	s_and_saveexec_b64 s[12:13], s[10:11]
	s_cbranch_execz .LBB5_95
; %bb.94:
	v_mov_b32_e32 v14, 0
	ds_read_b32 v14, v14 offset:4160
	s_waitcnt lgkmcnt(1)
	v_add_f32_e32 v12, v12, v13
	v_sub_f32_e32 v10, v10, v12
	s_waitcnt lgkmcnt(0)
	v_div_scale_f32 v12, s[14:15], v14, v14, v10
	v_rcp_f32_e32 v13, v12
	v_div_scale_f32 v15, vcc, v10, v14, v10
	v_fma_f32 v16, -v12, v13, 1.0
	v_fmac_f32_e32 v13, v16, v13
	v_mul_f32_e32 v16, v15, v13
	v_fma_f32 v17, -v12, v16, v15
	v_fmac_f32_e32 v16, v17, v13
	v_fma_f32 v12, -v12, v16, v15
	v_div_fmas_f32 v12, v12, v13, v16
	v_div_fixup_f32 v10, v12, v14, v10
.LBB5_95:
	s_or_b64 exec, exec, s[12:13]
	v_cmp_gt_u32_e64 s[46:47], 17, v11
	v_mov_b32_e32 v12, 0
	s_and_saveexec_b64 s[12:13], s[46:47]
	s_cbranch_execz .LBB5_97
; %bb.96:
	ds_read_b32 v12, v8 offset:4352
	s_waitcnt lgkmcnt(0)
	v_fma_f32 v12, v10, v12, 0
.LBB5_97:
	s_or_b64 exec, exec, s[12:13]
	s_waitcnt lgkmcnt(0)
	ds_bpermute_b32 v13, v3, v12
	v_cmp_eq_u32_e64 s[12:13], 17, v11
	s_waitcnt lgkmcnt(0)
	v_add_f32_e32 v12, v12, v13
	ds_bpermute_b32 v13, v4, v12
	s_waitcnt lgkmcnt(0)
	v_add_f32_e32 v12, v12, v13
	ds_bpermute_b32 v13, v5, v12
	s_waitcnt lgkmcnt(0)
	v_add_f32_e32 v12, v12, v13
	ds_bpermute_b32 v13, v6, v12
	s_waitcnt lgkmcnt(0)
	v_add_f32_e32 v12, v12, v13
	ds_bpermute_b32 v13, v7, v12
	s_and_saveexec_b64 s[14:15], s[12:13]
	s_cbranch_execz .LBB5_99
; %bb.98:
	v_mov_b32_e32 v14, 0
	ds_read_b32 v14, v14 offset:4420
	s_waitcnt lgkmcnt(1)
	v_add_f32_e32 v12, v12, v13
	v_sub_f32_e32 v10, v10, v12
	s_waitcnt lgkmcnt(0)
	v_div_scale_f32 v12, s[16:17], v14, v14, v10
	v_rcp_f32_e32 v13, v12
	v_div_scale_f32 v15, vcc, v10, v14, v10
	v_fma_f32 v16, -v12, v13, 1.0
	v_fmac_f32_e32 v13, v16, v13
	v_mul_f32_e32 v16, v15, v13
	v_fma_f32 v17, -v12, v16, v15
	v_fmac_f32_e32 v16, v17, v13
	v_fma_f32 v12, -v12, v16, v15
	v_div_fmas_f32 v12, v12, v13, v16
	v_div_fixup_f32 v10, v12, v14, v10
.LBB5_99:
	s_or_b64 exec, exec, s[14:15]
	v_cmp_gt_u32_e64 s[48:49], 18, v11
	v_mov_b32_e32 v12, 0
	s_and_saveexec_b64 s[14:15], s[48:49]
	s_cbranch_execz .LBB5_101
; %bb.100:
	ds_read_b32 v12, v8 offset:4608
	s_waitcnt lgkmcnt(0)
	v_fma_f32 v12, v10, v12, 0
.LBB5_101:
	s_or_b64 exec, exec, s[14:15]
	s_waitcnt lgkmcnt(0)
	ds_bpermute_b32 v13, v3, v12
	v_cmp_eq_u32_e64 s[14:15], 18, v11
	s_waitcnt lgkmcnt(0)
	v_add_f32_e32 v12, v12, v13
	ds_bpermute_b32 v13, v4, v12
	s_waitcnt lgkmcnt(0)
	v_add_f32_e32 v12, v12, v13
	ds_bpermute_b32 v13, v5, v12
	s_waitcnt lgkmcnt(0)
	v_add_f32_e32 v12, v12, v13
	ds_bpermute_b32 v13, v6, v12
	s_waitcnt lgkmcnt(0)
	v_add_f32_e32 v12, v12, v13
	ds_bpermute_b32 v13, v7, v12
	s_and_saveexec_b64 s[16:17], s[14:15]
	s_cbranch_execz .LBB5_103
; %bb.102:
	v_mov_b32_e32 v14, 0
	ds_read_b32 v14, v14 offset:4680
	s_waitcnt lgkmcnt(1)
	v_add_f32_e32 v12, v12, v13
	v_sub_f32_e32 v10, v10, v12
	s_waitcnt lgkmcnt(0)
	v_div_scale_f32 v12, s[18:19], v14, v14, v10
	v_rcp_f32_e32 v13, v12
	v_div_scale_f32 v15, vcc, v10, v14, v10
	v_fma_f32 v16, -v12, v13, 1.0
	v_fmac_f32_e32 v13, v16, v13
	v_mul_f32_e32 v16, v15, v13
	v_fma_f32 v17, -v12, v16, v15
	v_fmac_f32_e32 v16, v17, v13
	v_fma_f32 v12, -v12, v16, v15
	v_div_fmas_f32 v12, v12, v13, v16
	v_div_fixup_f32 v10, v12, v14, v10
.LBB5_103:
	s_or_b64 exec, exec, s[16:17]
	v_cmp_gt_u32_e64 s[50:51], 19, v11
	v_mov_b32_e32 v12, 0
	s_and_saveexec_b64 s[16:17], s[50:51]
	s_cbranch_execz .LBB5_105
; %bb.104:
	ds_read_b32 v12, v8 offset:4864
	s_waitcnt lgkmcnt(0)
	v_fma_f32 v12, v10, v12, 0
.LBB5_105:
	s_or_b64 exec, exec, s[16:17]
	s_waitcnt lgkmcnt(0)
	ds_bpermute_b32 v13, v3, v12
	v_cmp_eq_u32_e64 s[16:17], 19, v11
	s_waitcnt lgkmcnt(0)
	v_add_f32_e32 v12, v12, v13
	ds_bpermute_b32 v13, v4, v12
	s_waitcnt lgkmcnt(0)
	v_add_f32_e32 v12, v12, v13
	ds_bpermute_b32 v13, v5, v12
	s_waitcnt lgkmcnt(0)
	v_add_f32_e32 v12, v12, v13
	ds_bpermute_b32 v13, v6, v12
	s_waitcnt lgkmcnt(0)
	v_add_f32_e32 v12, v12, v13
	ds_bpermute_b32 v13, v7, v12
	s_and_saveexec_b64 s[18:19], s[16:17]
	s_cbranch_execz .LBB5_107
; %bb.106:
	v_mov_b32_e32 v14, 0
	ds_read_b32 v14, v14 offset:4940
	s_waitcnt lgkmcnt(1)
	v_add_f32_e32 v12, v12, v13
	v_sub_f32_e32 v10, v10, v12
	s_waitcnt lgkmcnt(0)
	v_div_scale_f32 v12, s[20:21], v14, v14, v10
	v_rcp_f32_e32 v13, v12
	v_div_scale_f32 v15, vcc, v10, v14, v10
	v_fma_f32 v16, -v12, v13, 1.0
	v_fmac_f32_e32 v13, v16, v13
	v_mul_f32_e32 v16, v15, v13
	v_fma_f32 v17, -v12, v16, v15
	v_fmac_f32_e32 v16, v17, v13
	v_fma_f32 v12, -v12, v16, v15
	v_div_fmas_f32 v12, v12, v13, v16
	v_div_fixup_f32 v10, v12, v14, v10
.LBB5_107:
	s_or_b64 exec, exec, s[18:19]
	v_cmp_gt_u32_e64 s[52:53], 20, v11
	v_mov_b32_e32 v12, 0
	s_and_saveexec_b64 s[18:19], s[52:53]
	s_cbranch_execz .LBB5_109
; %bb.108:
	ds_read_b32 v12, v8 offset:5120
	s_waitcnt lgkmcnt(0)
	v_fma_f32 v12, v10, v12, 0
.LBB5_109:
	s_or_b64 exec, exec, s[18:19]
	s_waitcnt lgkmcnt(0)
	ds_bpermute_b32 v13, v3, v12
	v_cmp_eq_u32_e64 s[18:19], 20, v11
	s_waitcnt lgkmcnt(0)
	v_add_f32_e32 v12, v12, v13
	ds_bpermute_b32 v13, v4, v12
	s_waitcnt lgkmcnt(0)
	v_add_f32_e32 v12, v12, v13
	ds_bpermute_b32 v13, v5, v12
	s_waitcnt lgkmcnt(0)
	v_add_f32_e32 v12, v12, v13
	ds_bpermute_b32 v13, v6, v12
	s_waitcnt lgkmcnt(0)
	v_add_f32_e32 v12, v12, v13
	ds_bpermute_b32 v13, v7, v12
	s_and_saveexec_b64 s[20:21], s[18:19]
	s_cbranch_execz .LBB5_111
; %bb.110:
	v_mov_b32_e32 v14, 0
	ds_read_b32 v14, v14 offset:5200
	s_waitcnt lgkmcnt(1)
	v_add_f32_e32 v12, v12, v13
	v_sub_f32_e32 v10, v10, v12
	s_waitcnt lgkmcnt(0)
	v_div_scale_f32 v12, s[22:23], v14, v14, v10
	v_rcp_f32_e32 v13, v12
	v_div_scale_f32 v15, vcc, v10, v14, v10
	v_fma_f32 v16, -v12, v13, 1.0
	v_fmac_f32_e32 v13, v16, v13
	v_mul_f32_e32 v16, v15, v13
	v_fma_f32 v17, -v12, v16, v15
	v_fmac_f32_e32 v16, v17, v13
	v_fma_f32 v12, -v12, v16, v15
	v_div_fmas_f32 v12, v12, v13, v16
	v_div_fixup_f32 v10, v12, v14, v10
.LBB5_111:
	s_or_b64 exec, exec, s[20:21]
	v_cmp_gt_u32_e64 s[54:55], 21, v11
	v_mov_b32_e32 v12, 0
	s_and_saveexec_b64 s[20:21], s[54:55]
	s_cbranch_execz .LBB5_113
; %bb.112:
	ds_read_b32 v12, v8 offset:5376
	s_waitcnt lgkmcnt(0)
	v_fma_f32 v12, v10, v12, 0
.LBB5_113:
	s_or_b64 exec, exec, s[20:21]
	s_waitcnt lgkmcnt(0)
	ds_bpermute_b32 v13, v3, v12
	v_cmp_eq_u32_e64 s[20:21], 21, v11
	s_waitcnt lgkmcnt(0)
	v_add_f32_e32 v12, v12, v13
	ds_bpermute_b32 v13, v4, v12
	s_waitcnt lgkmcnt(0)
	v_add_f32_e32 v12, v12, v13
	ds_bpermute_b32 v13, v5, v12
	s_waitcnt lgkmcnt(0)
	v_add_f32_e32 v12, v12, v13
	ds_bpermute_b32 v13, v6, v12
	s_waitcnt lgkmcnt(0)
	v_add_f32_e32 v12, v12, v13
	ds_bpermute_b32 v13, v7, v12
	s_and_saveexec_b64 s[22:23], s[20:21]
	s_cbranch_execz .LBB5_115
; %bb.114:
	v_mov_b32_e32 v14, 0
	ds_read_b32 v14, v14 offset:5460
	s_waitcnt lgkmcnt(1)
	v_add_f32_e32 v12, v12, v13
	v_sub_f32_e32 v10, v10, v12
	s_waitcnt lgkmcnt(0)
	v_div_scale_f32 v12, s[24:25], v14, v14, v10
	v_rcp_f32_e32 v13, v12
	v_div_scale_f32 v15, vcc, v10, v14, v10
	v_fma_f32 v16, -v12, v13, 1.0
	v_fmac_f32_e32 v13, v16, v13
	v_mul_f32_e32 v16, v15, v13
	v_fma_f32 v17, -v12, v16, v15
	v_fmac_f32_e32 v16, v17, v13
	v_fma_f32 v12, -v12, v16, v15
	v_div_fmas_f32 v12, v12, v13, v16
	v_div_fixup_f32 v10, v12, v14, v10
.LBB5_115:
	s_or_b64 exec, exec, s[22:23]
	v_cmp_gt_u32_e64 s[56:57], 22, v11
	v_mov_b32_e32 v12, 0
	s_and_saveexec_b64 s[22:23], s[56:57]
	s_cbranch_execz .LBB5_117
; %bb.116:
	ds_read_b32 v12, v8 offset:5632
	s_waitcnt lgkmcnt(0)
	v_fma_f32 v12, v10, v12, 0
.LBB5_117:
	s_or_b64 exec, exec, s[22:23]
	s_waitcnt lgkmcnt(0)
	ds_bpermute_b32 v13, v3, v12
	v_cmp_eq_u32_e64 s[22:23], 22, v11
	s_waitcnt lgkmcnt(0)
	v_add_f32_e32 v12, v12, v13
	ds_bpermute_b32 v13, v4, v12
	s_waitcnt lgkmcnt(0)
	v_add_f32_e32 v12, v12, v13
	ds_bpermute_b32 v13, v5, v12
	s_waitcnt lgkmcnt(0)
	v_add_f32_e32 v12, v12, v13
	ds_bpermute_b32 v13, v6, v12
	s_waitcnt lgkmcnt(0)
	v_add_f32_e32 v12, v12, v13
	ds_bpermute_b32 v13, v7, v12
	s_and_saveexec_b64 s[24:25], s[22:23]
	s_cbranch_execz .LBB5_119
; %bb.118:
	v_mov_b32_e32 v14, 0
	ds_read_b32 v14, v14 offset:5720
	s_waitcnt lgkmcnt(1)
	v_add_f32_e32 v12, v12, v13
	v_sub_f32_e32 v10, v10, v12
	s_waitcnt lgkmcnt(0)
	v_div_scale_f32 v12, s[26:27], v14, v14, v10
	v_rcp_f32_e32 v13, v12
	v_div_scale_f32 v15, vcc, v10, v14, v10
	v_fma_f32 v16, -v12, v13, 1.0
	v_fmac_f32_e32 v13, v16, v13
	v_mul_f32_e32 v16, v15, v13
	v_fma_f32 v17, -v12, v16, v15
	v_fmac_f32_e32 v16, v17, v13
	v_fma_f32 v12, -v12, v16, v15
	v_div_fmas_f32 v12, v12, v13, v16
	v_div_fixup_f32 v10, v12, v14, v10
.LBB5_119:
	s_or_b64 exec, exec, s[24:25]
	v_cmp_gt_u32_e64 s[58:59], 23, v11
	v_mov_b32_e32 v12, 0
	s_and_saveexec_b64 s[24:25], s[58:59]
	s_cbranch_execz .LBB5_121
; %bb.120:
	ds_read_b32 v12, v8 offset:5888
	s_waitcnt lgkmcnt(0)
	v_fma_f32 v12, v10, v12, 0
.LBB5_121:
	s_or_b64 exec, exec, s[24:25]
	s_waitcnt lgkmcnt(0)
	ds_bpermute_b32 v13, v3, v12
	v_cmp_eq_u32_e64 s[24:25], 23, v11
	s_waitcnt lgkmcnt(0)
	v_add_f32_e32 v12, v12, v13
	ds_bpermute_b32 v13, v4, v12
	s_waitcnt lgkmcnt(0)
	v_add_f32_e32 v12, v12, v13
	ds_bpermute_b32 v13, v5, v12
	s_waitcnt lgkmcnt(0)
	v_add_f32_e32 v12, v12, v13
	ds_bpermute_b32 v13, v6, v12
	s_waitcnt lgkmcnt(0)
	v_add_f32_e32 v12, v12, v13
	ds_bpermute_b32 v13, v7, v12
	s_and_saveexec_b64 s[26:27], s[24:25]
	s_cbranch_execz .LBB5_123
; %bb.122:
	v_mov_b32_e32 v14, 0
	ds_read_b32 v14, v14 offset:5980
	s_waitcnt lgkmcnt(1)
	v_add_f32_e32 v12, v12, v13
	v_sub_f32_e32 v10, v10, v12
	s_waitcnt lgkmcnt(0)
	v_div_scale_f32 v12, s[28:29], v14, v14, v10
	v_rcp_f32_e32 v13, v12
	v_div_scale_f32 v15, vcc, v10, v14, v10
	v_fma_f32 v16, -v12, v13, 1.0
	v_fmac_f32_e32 v13, v16, v13
	v_mul_f32_e32 v16, v15, v13
	v_fma_f32 v17, -v12, v16, v15
	v_fmac_f32_e32 v16, v17, v13
	v_fma_f32 v12, -v12, v16, v15
	v_div_fmas_f32 v12, v12, v13, v16
	v_div_fixup_f32 v10, v12, v14, v10
.LBB5_123:
	s_or_b64 exec, exec, s[26:27]
	v_cmp_gt_u32_e64 s[60:61], 24, v11
	v_mov_b32_e32 v12, 0
	s_and_saveexec_b64 s[26:27], s[60:61]
	s_cbranch_execz .LBB5_125
; %bb.124:
	ds_read_b32 v12, v8 offset:6144
	s_waitcnt lgkmcnt(0)
	v_fma_f32 v12, v10, v12, 0
.LBB5_125:
	s_or_b64 exec, exec, s[26:27]
	s_waitcnt lgkmcnt(0)
	ds_bpermute_b32 v13, v3, v12
	v_cmp_eq_u32_e64 s[26:27], 24, v11
	s_waitcnt lgkmcnt(0)
	v_add_f32_e32 v12, v12, v13
	ds_bpermute_b32 v13, v4, v12
	s_waitcnt lgkmcnt(0)
	v_add_f32_e32 v12, v12, v13
	ds_bpermute_b32 v13, v5, v12
	s_waitcnt lgkmcnt(0)
	v_add_f32_e32 v12, v12, v13
	ds_bpermute_b32 v13, v6, v12
	s_waitcnt lgkmcnt(0)
	v_add_f32_e32 v12, v12, v13
	ds_bpermute_b32 v13, v7, v12
	s_and_saveexec_b64 s[28:29], s[26:27]
	s_cbranch_execz .LBB5_127
; %bb.126:
	v_mov_b32_e32 v14, 0
	ds_read_b32 v14, v14 offset:6240
	s_waitcnt lgkmcnt(1)
	v_add_f32_e32 v12, v12, v13
	v_sub_f32_e32 v10, v10, v12
	s_waitcnt lgkmcnt(0)
	v_div_scale_f32 v12, s[30:31], v14, v14, v10
	v_rcp_f32_e32 v13, v12
	v_div_scale_f32 v15, vcc, v10, v14, v10
	v_fma_f32 v16, -v12, v13, 1.0
	v_fmac_f32_e32 v13, v16, v13
	v_mul_f32_e32 v16, v15, v13
	v_fma_f32 v17, -v12, v16, v15
	v_fmac_f32_e32 v16, v17, v13
	v_fma_f32 v12, -v12, v16, v15
	v_div_fmas_f32 v12, v12, v13, v16
	v_div_fixup_f32 v10, v12, v14, v10
.LBB5_127:
	s_or_b64 exec, exec, s[28:29]
	v_cmp_gt_u32_e64 s[62:63], 25, v11
	v_mov_b32_e32 v12, 0
	s_and_saveexec_b64 s[28:29], s[62:63]
	s_cbranch_execz .LBB5_129
; %bb.128:
	ds_read_b32 v12, v8 offset:6400
	s_waitcnt lgkmcnt(0)
	v_fma_f32 v12, v10, v12, 0
.LBB5_129:
	s_or_b64 exec, exec, s[28:29]
	s_waitcnt lgkmcnt(0)
	ds_bpermute_b32 v13, v3, v12
	v_cmp_eq_u32_e64 s[28:29], 25, v11
	s_waitcnt lgkmcnt(0)
	v_add_f32_e32 v12, v12, v13
	ds_bpermute_b32 v13, v4, v12
	s_waitcnt lgkmcnt(0)
	v_add_f32_e32 v12, v12, v13
	ds_bpermute_b32 v13, v5, v12
	s_waitcnt lgkmcnt(0)
	v_add_f32_e32 v12, v12, v13
	ds_bpermute_b32 v13, v6, v12
	s_waitcnt lgkmcnt(0)
	v_add_f32_e32 v12, v12, v13
	ds_bpermute_b32 v13, v7, v12
	s_and_saveexec_b64 s[30:31], s[28:29]
	s_cbranch_execz .LBB5_131
; %bb.130:
	v_mov_b32_e32 v14, 0
	ds_read_b32 v14, v14 offset:6500
	s_waitcnt lgkmcnt(1)
	v_add_f32_e32 v12, v12, v13
	v_sub_f32_e32 v10, v10, v12
	s_waitcnt lgkmcnt(0)
	v_div_scale_f32 v12, s[34:35], v14, v14, v10
	v_rcp_f32_e32 v13, v12
	v_div_scale_f32 v15, vcc, v10, v14, v10
	v_fma_f32 v16, -v12, v13, 1.0
	v_fmac_f32_e32 v13, v16, v13
	v_mul_f32_e32 v16, v15, v13
	v_fma_f32 v17, -v12, v16, v15
	v_fmac_f32_e32 v16, v17, v13
	v_fma_f32 v12, -v12, v16, v15
	v_div_fmas_f32 v12, v12, v13, v16
	v_div_fixup_f32 v10, v12, v14, v10
.LBB5_131:
	s_or_b64 exec, exec, s[30:31]
	v_cmp_gt_u32_e64 s[64:65], 26, v11
	v_mov_b32_e32 v12, 0
	s_and_saveexec_b64 s[30:31], s[64:65]
	s_cbranch_execz .LBB5_133
; %bb.132:
	ds_read_b32 v12, v8 offset:6656
	s_waitcnt lgkmcnt(0)
	v_fma_f32 v12, v10, v12, 0
.LBB5_133:
	s_or_b64 exec, exec, s[30:31]
	s_waitcnt lgkmcnt(0)
	ds_bpermute_b32 v13, v3, v12
	v_cmp_eq_u32_e64 s[30:31], 26, v11
	s_waitcnt lgkmcnt(0)
	v_add_f32_e32 v12, v12, v13
	ds_bpermute_b32 v13, v4, v12
	s_waitcnt lgkmcnt(0)
	v_add_f32_e32 v12, v12, v13
	ds_bpermute_b32 v13, v5, v12
	s_waitcnt lgkmcnt(0)
	v_add_f32_e32 v12, v12, v13
	ds_bpermute_b32 v13, v6, v12
	s_waitcnt lgkmcnt(0)
	v_add_f32_e32 v12, v12, v13
	ds_bpermute_b32 v13, v7, v12
	s_and_saveexec_b64 s[34:35], s[30:31]
	s_cbranch_execz .LBB5_135
; %bb.134:
	v_mov_b32_e32 v14, 0
	ds_read_b32 v14, v14 offset:6760
	s_waitcnt lgkmcnt(1)
	v_add_f32_e32 v12, v12, v13
	v_sub_f32_e32 v10, v10, v12
	s_waitcnt lgkmcnt(0)
	v_div_scale_f32 v12, s[36:37], v14, v14, v10
	v_rcp_f32_e32 v13, v12
	v_div_scale_f32 v15, vcc, v10, v14, v10
	v_fma_f32 v16, -v12, v13, 1.0
	v_fmac_f32_e32 v13, v16, v13
	v_mul_f32_e32 v16, v15, v13
	v_fma_f32 v17, -v12, v16, v15
	v_fmac_f32_e32 v16, v17, v13
	v_fma_f32 v12, -v12, v16, v15
	v_div_fmas_f32 v12, v12, v13, v16
	v_div_fixup_f32 v10, v12, v14, v10
.LBB5_135:
	s_or_b64 exec, exec, s[34:35]
	v_cmp_gt_u32_e64 s[66:67], 27, v11
	v_mov_b32_e32 v12, 0
	s_and_saveexec_b64 s[34:35], s[66:67]
	s_cbranch_execz .LBB5_137
; %bb.136:
	ds_read_b32 v12, v8 offset:6912
	s_waitcnt lgkmcnt(0)
	v_fma_f32 v12, v10, v12, 0
.LBB5_137:
	s_or_b64 exec, exec, s[34:35]
	s_waitcnt lgkmcnt(0)
	ds_bpermute_b32 v13, v3, v12
	v_cmp_eq_u32_e64 s[34:35], 27, v11
	s_waitcnt lgkmcnt(0)
	v_add_f32_e32 v12, v12, v13
	ds_bpermute_b32 v13, v4, v12
	s_waitcnt lgkmcnt(0)
	v_add_f32_e32 v12, v12, v13
	ds_bpermute_b32 v13, v5, v12
	s_waitcnt lgkmcnt(0)
	v_add_f32_e32 v12, v12, v13
	ds_bpermute_b32 v13, v6, v12
	s_waitcnt lgkmcnt(0)
	v_add_f32_e32 v12, v12, v13
	ds_bpermute_b32 v13, v7, v12
	s_and_saveexec_b64 s[36:37], s[34:35]
	s_cbranch_execz .LBB5_139
; %bb.138:
	v_mov_b32_e32 v14, 0
	ds_read_b32 v14, v14 offset:7020
	s_waitcnt lgkmcnt(1)
	v_add_f32_e32 v12, v12, v13
	v_sub_f32_e32 v10, v10, v12
	s_waitcnt lgkmcnt(0)
	v_div_scale_f32 v12, s[38:39], v14, v14, v10
	v_rcp_f32_e32 v13, v12
	v_div_scale_f32 v15, vcc, v10, v14, v10
	v_fma_f32 v16, -v12, v13, 1.0
	v_fmac_f32_e32 v13, v16, v13
	v_mul_f32_e32 v16, v15, v13
	v_fma_f32 v17, -v12, v16, v15
	v_fmac_f32_e32 v16, v17, v13
	v_fma_f32 v12, -v12, v16, v15
	v_div_fmas_f32 v12, v12, v13, v16
	v_div_fixup_f32 v10, v12, v14, v10
.LBB5_139:
	s_or_b64 exec, exec, s[36:37]
	v_cmp_gt_u32_e64 s[68:69], 28, v11
	v_mov_b32_e32 v12, 0
	s_and_saveexec_b64 s[36:37], s[68:69]
	s_cbranch_execz .LBB5_141
; %bb.140:
	ds_read_b32 v12, v8 offset:7168
	s_waitcnt lgkmcnt(0)
	v_fma_f32 v12, v10, v12, 0
.LBB5_141:
	s_or_b64 exec, exec, s[36:37]
	s_waitcnt lgkmcnt(0)
	ds_bpermute_b32 v13, v3, v12
	v_cmp_eq_u32_e64 s[36:37], 28, v11
	s_waitcnt lgkmcnt(0)
	v_add_f32_e32 v12, v12, v13
	ds_bpermute_b32 v13, v4, v12
	s_waitcnt lgkmcnt(0)
	v_add_f32_e32 v12, v12, v13
	ds_bpermute_b32 v13, v5, v12
	s_waitcnt lgkmcnt(0)
	v_add_f32_e32 v12, v12, v13
	ds_bpermute_b32 v13, v6, v12
	s_waitcnt lgkmcnt(0)
	v_add_f32_e32 v12, v12, v13
	ds_bpermute_b32 v13, v7, v12
	s_and_saveexec_b64 s[38:39], s[36:37]
	s_cbranch_execz .LBB5_143
; %bb.142:
	v_mov_b32_e32 v14, 0
	ds_read_b32 v14, v14 offset:7280
	s_waitcnt lgkmcnt(1)
	v_add_f32_e32 v12, v12, v13
	v_sub_f32_e32 v10, v10, v12
	s_waitcnt lgkmcnt(0)
	v_div_scale_f32 v12, s[40:41], v14, v14, v10
	v_rcp_f32_e32 v13, v12
	v_div_scale_f32 v15, vcc, v10, v14, v10
	v_fma_f32 v16, -v12, v13, 1.0
	v_fmac_f32_e32 v13, v16, v13
	v_mul_f32_e32 v16, v15, v13
	v_fma_f32 v17, -v12, v16, v15
	v_fmac_f32_e32 v16, v17, v13
	v_fma_f32 v12, -v12, v16, v15
	v_div_fmas_f32 v12, v12, v13, v16
	v_div_fixup_f32 v10, v12, v14, v10
.LBB5_143:
	s_or_b64 exec, exec, s[38:39]
	v_cmp_gt_u32_e64 s[70:71], 29, v11
	v_mov_b32_e32 v12, 0
	s_and_saveexec_b64 s[38:39], s[70:71]
	s_cbranch_execz .LBB5_145
; %bb.144:
	ds_read_b32 v12, v8 offset:7424
	s_waitcnt lgkmcnt(0)
	v_fma_f32 v12, v10, v12, 0
.LBB5_145:
	s_or_b64 exec, exec, s[38:39]
	s_waitcnt lgkmcnt(0)
	ds_bpermute_b32 v13, v3, v12
	v_cmp_eq_u32_e64 s[38:39], 29, v11
	s_waitcnt lgkmcnt(0)
	v_add_f32_e32 v12, v12, v13
	ds_bpermute_b32 v13, v4, v12
	s_waitcnt lgkmcnt(0)
	v_add_f32_e32 v12, v12, v13
	ds_bpermute_b32 v13, v5, v12
	s_waitcnt lgkmcnt(0)
	v_add_f32_e32 v12, v12, v13
	ds_bpermute_b32 v13, v6, v12
	s_waitcnt lgkmcnt(0)
	v_add_f32_e32 v12, v12, v13
	ds_bpermute_b32 v13, v7, v12
	s_and_saveexec_b64 s[40:41], s[38:39]
	s_cbranch_execz .LBB5_147
; %bb.146:
	v_mov_b32_e32 v14, 0
	ds_read_b32 v14, v14 offset:7540
	s_waitcnt lgkmcnt(1)
	v_add_f32_e32 v12, v12, v13
	v_sub_f32_e32 v10, v10, v12
	s_waitcnt lgkmcnt(0)
	v_div_scale_f32 v12, s[42:43], v14, v14, v10
	v_rcp_f32_e32 v13, v12
	v_div_scale_f32 v15, vcc, v10, v14, v10
	v_fma_f32 v16, -v12, v13, 1.0
	v_fmac_f32_e32 v13, v16, v13
	v_mul_f32_e32 v16, v15, v13
	v_fma_f32 v17, -v12, v16, v15
	v_fmac_f32_e32 v16, v17, v13
	v_fma_f32 v12, -v12, v16, v15
	v_div_fmas_f32 v12, v12, v13, v16
	v_div_fixup_f32 v10, v12, v14, v10
.LBB5_147:
	s_or_b64 exec, exec, s[40:41]
	v_cmp_gt_u32_e64 s[72:73], 30, v11
	v_mov_b32_e32 v12, 0
	s_and_saveexec_b64 s[40:41], s[72:73]
	s_cbranch_execz .LBB5_149
; %bb.148:
	ds_read_b32 v12, v8 offset:7680
	s_waitcnt lgkmcnt(0)
	v_fma_f32 v12, v10, v12, 0
.LBB5_149:
	s_or_b64 exec, exec, s[40:41]
	s_waitcnt lgkmcnt(0)
	ds_bpermute_b32 v13, v3, v12
	v_cmp_eq_u32_e64 s[40:41], 30, v11
	s_waitcnt lgkmcnt(0)
	v_add_f32_e32 v12, v12, v13
	ds_bpermute_b32 v13, v4, v12
	s_waitcnt lgkmcnt(0)
	v_add_f32_e32 v12, v12, v13
	ds_bpermute_b32 v13, v5, v12
	;; [unrolled: 3-line block ×4, first 2 shown]
	s_and_saveexec_b64 s[42:43], s[40:41]
	s_cbranch_execz .LBB5_151
; %bb.150:
	v_mov_b32_e32 v14, 0
	ds_read_b32 v14, v14 offset:7800
	s_waitcnt lgkmcnt(1)
	v_add_f32_e32 v12, v12, v13
	v_sub_f32_e32 v10, v10, v12
	s_waitcnt lgkmcnt(0)
	v_div_scale_f32 v12, vcc, v14, v14, v10
	v_rcp_f32_e32 v13, v12
	v_div_scale_f32 v15, vcc, v10, v14, v10
	v_fma_f32 v16, -v12, v13, 1.0
	v_fmac_f32_e32 v13, v16, v13
	v_mul_f32_e32 v16, v15, v13
	v_fma_f32 v17, -v12, v16, v15
	v_fmac_f32_e32 v16, v17, v13
	v_fma_f32 v12, -v12, v16, v15
	v_div_fmas_f32 v12, v12, v13, v16
	v_div_fixup_f32 v10, v12, v14, v10
.LBB5_151:
	s_or_b64 exec, exec, s[42:43]
	v_mov_b32_e32 v12, 0
	v_cmp_gt_u32_e32 vcc, 31, v11
	s_mov_b64 s[42:43], exec
	v_writelane_b32 v18, vcc_lo, 40
	v_writelane_b32 v18, vcc_hi, 41
	s_and_b64 vcc, s[42:43], vcc
	s_mov_b64 exec, vcc
	s_cbranch_execz .LBB5_153
; %bb.152:
	ds_read_b32 v12, v8 offset:7936
	s_waitcnt lgkmcnt(0)
	v_fma_f32 v12, v10, v12, 0
.LBB5_153:
	s_or_b64 exec, exec, s[42:43]
	s_waitcnt lgkmcnt(0)
	ds_bpermute_b32 v13, v3, v12
	v_cmp_eq_u32_e32 vcc, 31, v11
	s_waitcnt lgkmcnt(0)
	v_add_f32_e32 v12, v12, v13
	ds_bpermute_b32 v13, v4, v12
	s_waitcnt lgkmcnt(0)
	v_add_f32_e32 v12, v12, v13
	ds_bpermute_b32 v13, v5, v12
	;; [unrolled: 3-line block ×4, first 2 shown]
	s_mov_b64 s[42:43], exec
	v_writelane_b32 v18, vcc_lo, 42
	v_writelane_b32 v18, vcc_hi, 43
	s_and_b64 vcc, s[42:43], vcc
	s_mov_b64 exec, vcc
	s_cbranch_execz .LBB5_155
; %bb.154:
	v_mov_b32_e32 v11, 0
	ds_read_b32 v11, v11 offset:8060
	s_waitcnt lgkmcnt(1)
	v_add_f32_e32 v12, v12, v13
	v_sub_f32_e32 v10, v10, v12
	s_waitcnt lgkmcnt(0)
	v_div_scale_f32 v12, vcc, v11, v11, v10
	v_rcp_f32_e32 v13, v12
	v_div_scale_f32 v14, vcc, v10, v11, v10
	v_fma_f32 v15, -v12, v13, 1.0
	v_fmac_f32_e32 v13, v15, v13
	v_mul_f32_e32 v15, v14, v13
	v_fma_f32 v16, -v12, v15, v14
	v_fmac_f32_e32 v15, v16, v13
	v_fma_f32 v12, -v12, v15, v14
	v_div_fmas_f32 v12, v12, v13, v15
	v_div_fixup_f32 v10, v12, v11, v10
.LBB5_155:
	s_or_b64 exec, exec, s[42:43]
	ds_read_b32 v11, v8 offset:8192
	s_waitcnt lgkmcnt(0)
	v_mul_f32_e32 v12, v10, v11
	ds_bpermute_b32 v12, v3, v12
	s_waitcnt lgkmcnt(0)
	v_fmac_f32_e32 v12, v10, v11
	ds_bpermute_b32 v11, v4, v12
	s_waitcnt lgkmcnt(0)
	v_add_f32_e32 v11, v12, v11
	ds_bpermute_b32 v12, v5, v11
	s_waitcnt lgkmcnt(0)
	v_add_f32_e32 v11, v11, v12
	;; [unrolled: 3-line block ×3, first 2 shown]
	ds_bpermute_b32 v12, v7, v11
	s_and_saveexec_b64 s[42:43], s[6:7]
	s_cbranch_execz .LBB5_157
; %bb.156:
	v_mov_b32_e32 v13, 0
	ds_read_b32 v13, v13 offset:8320
	s_waitcnt lgkmcnt(1)
	v_add_f32_e32 v11, v11, v12
	v_sub_f32_e32 v9, v9, v11
	s_waitcnt lgkmcnt(0)
	v_div_scale_f32 v11, vcc, v13, v13, v9
	v_rcp_f32_e32 v12, v11
	v_div_scale_f32 v14, vcc, v9, v13, v9
	v_fma_f32 v15, -v11, v12, 1.0
	v_fmac_f32_e32 v12, v15, v12
	v_mul_f32_e32 v15, v14, v12
	v_fma_f32 v16, -v11, v15, v14
	v_fmac_f32_e32 v15, v16, v12
	v_fma_f32 v11, -v11, v15, v14
	v_div_fmas_f32 v11, v11, v12, v15
	v_div_fixup_f32 v9, v11, v13, v9
.LBB5_157:
	s_or_b64 exec, exec, s[42:43]
	v_mov_b32_e32 v11, 0
	s_waitcnt lgkmcnt(0)
	ds_read_b32 v12, v8 offset:8448
	ds_read_b32 v13, v11 offset:8576
	s_waitcnt lgkmcnt(1)
	v_mul_f32_e32 v12, v10, v12
	s_waitcnt lgkmcnt(0)
	v_fma_f32 v13, v9, v13, v12
	v_cndmask_b32_e64 v12, v12, v13, s[6:7]
	ds_bpermute_b32 v13, v3, v12
	s_waitcnt lgkmcnt(0)
	v_add_f32_e32 v12, v12, v13
	ds_bpermute_b32 v13, v4, v12
	s_waitcnt lgkmcnt(0)
	v_add_f32_e32 v12, v12, v13
	;; [unrolled: 3-line block ×4, first 2 shown]
	ds_bpermute_b32 v13, v7, v12
	s_mov_b64 s[6:7], exec
	v_readlane_b32 s42, v18, 8
	v_readlane_b32 s43, v18, 9
	s_and_b64 s[42:43], s[6:7], s[42:43]
	s_mov_b64 exec, s[42:43]
	s_cbranch_execz .LBB5_159
; %bb.158:
	ds_read_b32 v11, v11 offset:8580
	s_waitcnt lgkmcnt(1)
	v_add_f32_e32 v12, v12, v13
	v_sub_f32_e32 v9, v9, v12
	s_waitcnt lgkmcnt(0)
	v_div_scale_f32 v12, s[42:43], v11, v11, v9
	v_rcp_f32_e32 v13, v12
	v_div_scale_f32 v14, vcc, v9, v11, v9
	v_fma_f32 v15, -v12, v13, 1.0
	v_fmac_f32_e32 v13, v15, v13
	v_mul_f32_e32 v15, v14, v13
	v_fma_f32 v16, -v12, v15, v14
	v_fmac_f32_e32 v15, v16, v13
	v_fma_f32 v12, -v12, v15, v14
	v_div_fmas_f32 v12, v12, v13, v15
	v_div_fixup_f32 v9, v12, v11, v9
.LBB5_159:
	s_or_b64 exec, exec, s[6:7]
	ds_read_b32 v11, v8 offset:8704
	s_waitcnt lgkmcnt(0)
	v_mul_f32_e32 v11, v10, v11
	s_mov_b64 s[6:7], exec
	v_readlane_b32 s42, v18, 10
	v_readlane_b32 s43, v18, 11
	s_and_b64 s[42:43], s[6:7], s[42:43]
	s_mov_b64 exec, s[42:43]
	s_cbranch_execz .LBB5_161
; %bb.160:
	ds_read_b32 v12, v8 offset:8832
	s_waitcnt lgkmcnt(0)
	v_fmac_f32_e32 v11, v9, v12
.LBB5_161:
	s_or_b64 exec, exec, s[6:7]
	ds_bpermute_b32 v12, v3, v11
	s_waitcnt lgkmcnt(0)
	v_add_f32_e32 v11, v11, v12
	ds_bpermute_b32 v12, v4, v11
	s_waitcnt lgkmcnt(0)
	v_add_f32_e32 v11, v11, v12
	ds_bpermute_b32 v12, v5, v11
	s_waitcnt lgkmcnt(0)
	v_add_f32_e32 v11, v11, v12
	ds_bpermute_b32 v12, v6, v11
	s_waitcnt lgkmcnt(0)
	v_add_f32_e32 v11, v11, v12
	ds_bpermute_b32 v12, v7, v11
	s_and_saveexec_b64 s[6:7], s[74:75]
	s_cbranch_execz .LBB5_163
; %bb.162:
	v_mov_b32_e32 v13, 0
	ds_read_b32 v13, v13 offset:8840
	s_waitcnt lgkmcnt(1)
	v_add_f32_e32 v11, v11, v12
	v_sub_f32_e32 v9, v9, v11
	s_waitcnt lgkmcnt(0)
	v_div_scale_f32 v11, s[42:43], v13, v13, v9
	v_rcp_f32_e32 v12, v11
	v_div_scale_f32 v14, vcc, v9, v13, v9
	v_fma_f32 v15, -v11, v12, 1.0
	v_fmac_f32_e32 v12, v15, v12
	v_mul_f32_e32 v15, v14, v12
	v_fma_f32 v16, -v11, v15, v14
	v_fmac_f32_e32 v15, v16, v12
	v_fma_f32 v11, -v11, v15, v14
	v_div_fmas_f32 v11, v11, v12, v15
	v_div_fixup_f32 v9, v11, v13, v9
.LBB5_163:
	s_or_b64 exec, exec, s[6:7]
	ds_read_b32 v11, v8 offset:8960
	s_waitcnt lgkmcnt(0)
	v_mul_f32_e32 v11, v10, v11
	s_mov_b64 s[6:7], exec
	v_readlane_b32 s42, v18, 12
	v_readlane_b32 s43, v18, 13
	s_and_b64 s[42:43], s[6:7], s[42:43]
	s_mov_b64 exec, s[42:43]
	s_cbranch_execz .LBB5_165
; %bb.164:
	ds_read_b32 v12, v8 offset:9088
	s_waitcnt lgkmcnt(0)
	v_fmac_f32_e32 v11, v9, v12
.LBB5_165:
	s_or_b64 exec, exec, s[6:7]
	ds_bpermute_b32 v12, v3, v11
	s_waitcnt lgkmcnt(0)
	v_add_f32_e32 v11, v11, v12
	ds_bpermute_b32 v12, v4, v11
	s_waitcnt lgkmcnt(0)
	v_add_f32_e32 v11, v11, v12
	ds_bpermute_b32 v12, v5, v11
	s_waitcnt lgkmcnt(0)
	v_add_f32_e32 v11, v11, v12
	ds_bpermute_b32 v12, v6, v11
	s_waitcnt lgkmcnt(0)
	v_add_f32_e32 v11, v11, v12
	ds_bpermute_b32 v12, v7, v11
	s_and_saveexec_b64 s[6:7], s[76:77]
	s_cbranch_execz .LBB5_167
; %bb.166:
	v_mov_b32_e32 v13, 0
	ds_read_b32 v13, v13 offset:9100
	s_waitcnt lgkmcnt(1)
	v_add_f32_e32 v11, v11, v12
	v_sub_f32_e32 v9, v9, v11
	s_waitcnt lgkmcnt(0)
	v_div_scale_f32 v11, s[42:43], v13, v13, v9
	v_rcp_f32_e32 v12, v11
	v_div_scale_f32 v14, vcc, v9, v13, v9
	v_fma_f32 v15, -v11, v12, 1.0
	v_fmac_f32_e32 v12, v15, v12
	v_mul_f32_e32 v15, v14, v12
	v_fma_f32 v16, -v11, v15, v14
	v_fmac_f32_e32 v15, v16, v12
	v_fma_f32 v11, -v11, v15, v14
	v_div_fmas_f32 v11, v11, v12, v15
	v_div_fixup_f32 v9, v11, v13, v9
.LBB5_167:
	;; [unrolled: 50-line block ×15, first 2 shown]
	s_or_b64 exec, exec, s[0:1]
	ds_read_b32 v11, v8 offset:12544
	s_waitcnt lgkmcnt(0)
	v_mul_f32_e32 v11, v10, v11
	s_and_saveexec_b64 s[0:1], s[46:47]
	s_cbranch_execz .LBB5_221
; %bb.220:
	ds_read_b32 v12, v8 offset:12672
	s_waitcnt lgkmcnt(0)
	v_fmac_f32_e32 v11, v9, v12
.LBB5_221:
	s_or_b64 exec, exec, s[0:1]
	ds_bpermute_b32 v12, v3, v11
	s_waitcnt lgkmcnt(0)
	v_add_f32_e32 v11, v11, v12
	ds_bpermute_b32 v12, v4, v11
	s_waitcnt lgkmcnt(0)
	v_add_f32_e32 v11, v11, v12
	ds_bpermute_b32 v12, v5, v11
	s_waitcnt lgkmcnt(0)
	v_add_f32_e32 v11, v11, v12
	ds_bpermute_b32 v12, v6, v11
	s_waitcnt lgkmcnt(0)
	v_add_f32_e32 v11, v11, v12
	ds_bpermute_b32 v12, v7, v11
	s_and_saveexec_b64 s[0:1], s[12:13]
	s_cbranch_execz .LBB5_223
; %bb.222:
	v_mov_b32_e32 v13, 0
	ds_read_b32 v13, v13 offset:12740
	s_waitcnt lgkmcnt(1)
	v_add_f32_e32 v11, v11, v12
	v_sub_f32_e32 v9, v9, v11
	s_waitcnt lgkmcnt(0)
	v_div_scale_f32 v11, s[2:3], v13, v13, v9
	v_rcp_f32_e32 v12, v11
	v_div_scale_f32 v14, vcc, v9, v13, v9
	v_fma_f32 v15, -v11, v12, 1.0
	v_fmac_f32_e32 v12, v15, v12
	v_mul_f32_e32 v15, v14, v12
	v_fma_f32 v16, -v11, v15, v14
	v_fmac_f32_e32 v15, v16, v12
	v_fma_f32 v11, -v11, v15, v14
	v_div_fmas_f32 v11, v11, v12, v15
	v_div_fixup_f32 v9, v11, v13, v9
.LBB5_223:
	s_or_b64 exec, exec, s[0:1]
	ds_read_b32 v11, v8 offset:12800
	s_waitcnt lgkmcnt(0)
	v_mul_f32_e32 v11, v10, v11
	s_and_saveexec_b64 s[0:1], s[48:49]
	s_cbranch_execz .LBB5_225
; %bb.224:
	ds_read_b32 v12, v8 offset:12928
	s_waitcnt lgkmcnt(0)
	v_fmac_f32_e32 v11, v9, v12
.LBB5_225:
	s_or_b64 exec, exec, s[0:1]
	ds_bpermute_b32 v12, v3, v11
	s_waitcnt lgkmcnt(0)
	v_add_f32_e32 v11, v11, v12
	ds_bpermute_b32 v12, v4, v11
	s_waitcnt lgkmcnt(0)
	v_add_f32_e32 v11, v11, v12
	ds_bpermute_b32 v12, v5, v11
	s_waitcnt lgkmcnt(0)
	v_add_f32_e32 v11, v11, v12
	ds_bpermute_b32 v12, v6, v11
	s_waitcnt lgkmcnt(0)
	v_add_f32_e32 v11, v11, v12
	ds_bpermute_b32 v12, v7, v11
	s_and_saveexec_b64 s[0:1], s[14:15]
	s_cbranch_execz .LBB5_227
; %bb.226:
	v_mov_b32_e32 v13, 0
	ds_read_b32 v13, v13 offset:13000
	s_waitcnt lgkmcnt(1)
	v_add_f32_e32 v11, v11, v12
	v_sub_f32_e32 v9, v9, v11
	s_waitcnt lgkmcnt(0)
	v_div_scale_f32 v11, s[2:3], v13, v13, v9
	v_rcp_f32_e32 v12, v11
	v_div_scale_f32 v14, vcc, v9, v13, v9
	v_fma_f32 v15, -v11, v12, 1.0
	v_fmac_f32_e32 v12, v15, v12
	v_mul_f32_e32 v15, v14, v12
	v_fma_f32 v16, -v11, v15, v14
	v_fmac_f32_e32 v15, v16, v12
	v_fma_f32 v11, -v11, v15, v14
	v_div_fmas_f32 v11, v11, v12, v15
	v_div_fixup_f32 v9, v11, v13, v9
.LBB5_227:
	;; [unrolled: 46-line block ×14, first 2 shown]
	s_or_b64 exec, exec, s[0:1]
	ds_read_b32 v11, v8 offset:16128
	s_load_dwordx2 s[0:1], s[4:5], 0x10
	s_waitcnt lgkmcnt(0)
	v_mul_f32_e32 v11, v10, v11
	s_mov_b64 s[2:3], exec
	v_readlane_b32 s4, v18, 40
	v_readlane_b32 s5, v18, 41
	s_and_b64 s[4:5], s[2:3], s[4:5]
	s_mov_b64 exec, s[4:5]
	s_cbranch_execz .LBB5_277
; %bb.276:
	ds_read_b32 v8, v8 offset:16256
	s_waitcnt lgkmcnt(0)
	v_fmac_f32_e32 v11, v9, v8
.LBB5_277:
	s_or_b64 exec, exec, s[2:3]
	ds_bpermute_b32 v3, v3, v11
	s_waitcnt lgkmcnt(0)
	v_add_f32_e32 v3, v11, v3
	ds_bpermute_b32 v4, v4, v3
	s_waitcnt lgkmcnt(0)
	v_add_f32_e32 v3, v3, v4
	;; [unrolled: 3-line block ×4, first 2 shown]
	ds_bpermute_b32 v4, v7, v3
	s_mov_b64 s[2:3], exec
	v_readlane_b32 s4, v18, 42
	v_readlane_b32 s5, v18, 43
	s_and_b64 s[4:5], s[2:3], s[4:5]
	s_mov_b64 exec, s[4:5]
	s_cbranch_execz .LBB5_279
; %bb.278:
	v_mov_b32_e32 v5, 0
	ds_read_b32 v5, v5 offset:16380
	s_waitcnt lgkmcnt(1)
	v_add_f32_e32 v3, v3, v4
	v_sub_f32_e32 v3, v9, v3
	s_waitcnt lgkmcnt(0)
	v_div_scale_f32 v4, s[4:5], v5, v5, v3
	v_rcp_f32_e32 v6, v4
	v_div_scale_f32 v7, vcc, v3, v5, v3
	v_fma_f32 v8, -v4, v6, 1.0
	v_fmac_f32_e32 v6, v8, v6
	v_mul_f32_e32 v8, v7, v6
	v_fma_f32 v9, -v4, v8, v7
	v_fmac_f32_e32 v8, v9, v6
	v_fma_f32 v4, -v4, v8, v7
	v_div_fmas_f32 v4, v4, v6, v8
	v_div_fixup_f32 v9, v4, v5, v3
.LBB5_279:
	s_or_b64 exec, exec, s[2:3]
	v_readlane_b32 s4, v18, 0
	v_readlane_b32 s5, v18, 1
	;; [unrolled: 1-line block ×4, first 2 shown]
	s_mul_i32 s2, s44, s5
	s_mul_hi_u32 s3, s44, s4
	s_add_i32 s3, s3, s2
	s_mul_i32 s2, s44, s4
	s_mul_i32 s4, s33, s7
	s_mul_hi_u32 s5, s33, s6
	s_add_i32 s5, s5, s4
	s_lshl_b64 s[2:3], s[2:3], 2
	s_mul_i32 s4, s33, s6
	s_add_u32 s2, s0, s2
	s_addc_u32 s3, s1, s3
	s_lshl_b64 s[0:1], s[4:5], 2
	s_add_u32 s0, s2, s0
	s_addc_u32 s1, s3, s1
	s_mov_b64 s[2:3], exec
	v_readlane_b32 s4, v18, 4
	v_readlane_b32 s5, v18, 5
	s_and_b64 s[4:5], s[2:3], s[4:5]
	s_mov_b64 exec, s[4:5]
	s_cbranch_execz .LBB5_281
; %bb.280:
	v_readlane_b32 s4, v18, 6
	v_readlane_b32 s5, v18, 7
	v_cndmask_b32_e64 v3, v9, v10, s[4:5]
	v_add_lshl_u32 v0, v0, v1, 2
	global_store_dword v0, v3, s[0:1]
.LBB5_281:
	s_or_b64 exec, exec, s[2:3]
	v_readlane_b32 s2, v18, 6
	v_readlane_b32 s3, v18, 7
	s_and_b64 exec, exec, s[2:3]
	s_cbranch_execz .LBB5_283
; %bb.282:
	v_add_lshl_u32 v0, v2, v1, 2
	global_store_dword v0, v9, s[0:1]
.LBB5_283:
	s_endpgm
	.section	.rodata,"a",@progbits
	.p2align	6, 0x0
	.amdhsa_kernel _ZL18solve_tri_f32_fastILi64ELi10EEvPKfS1_Pf15HIP_vector_typeIjLj3EEmmmmmmii
		.amdhsa_group_segment_fixed_size 16384
		.amdhsa_private_segment_fixed_size 0
		.amdhsa_kernarg_size 352
		.amdhsa_user_sgpr_count 6
		.amdhsa_user_sgpr_private_segment_buffer 1
		.amdhsa_user_sgpr_dispatch_ptr 0
		.amdhsa_user_sgpr_queue_ptr 0
		.amdhsa_user_sgpr_kernarg_segment_ptr 1
		.amdhsa_user_sgpr_dispatch_id 0
		.amdhsa_user_sgpr_flat_scratch_init 0
		.amdhsa_user_sgpr_kernarg_preload_length 0
		.amdhsa_user_sgpr_kernarg_preload_offset 0
		.amdhsa_user_sgpr_private_segment_size 0
		.amdhsa_uses_dynamic_stack 0
		.amdhsa_system_sgpr_private_segment_wavefront_offset 0
		.amdhsa_system_sgpr_workgroup_id_x 1
		.amdhsa_system_sgpr_workgroup_id_y 0
		.amdhsa_system_sgpr_workgroup_id_z 0
		.amdhsa_system_sgpr_workgroup_info 0
		.amdhsa_system_vgpr_workitem_id 1
		.amdhsa_next_free_vgpr 19
		.amdhsa_next_free_sgpr 96
		.amdhsa_accum_offset 20
		.amdhsa_reserve_vcc 1
		.amdhsa_reserve_flat_scratch 0
		.amdhsa_float_round_mode_32 0
		.amdhsa_float_round_mode_16_64 0
		.amdhsa_float_denorm_mode_32 3
		.amdhsa_float_denorm_mode_16_64 3
		.amdhsa_dx10_clamp 1
		.amdhsa_ieee_mode 1
		.amdhsa_fp16_overflow 0
		.amdhsa_tg_split 0
		.amdhsa_exception_fp_ieee_invalid_op 0
		.amdhsa_exception_fp_denorm_src 0
		.amdhsa_exception_fp_ieee_div_zero 0
		.amdhsa_exception_fp_ieee_overflow 0
		.amdhsa_exception_fp_ieee_underflow 0
		.amdhsa_exception_fp_ieee_inexact 0
		.amdhsa_exception_int_div_zero 0
	.end_amdhsa_kernel
	.section	.text._ZL18solve_tri_f32_fastILi64ELi10EEvPKfS1_Pf15HIP_vector_typeIjLj3EEmmmmmmii,"axG",@progbits,_ZL18solve_tri_f32_fastILi64ELi10EEvPKfS1_Pf15HIP_vector_typeIjLj3EEmmmmmmii,comdat
.Lfunc_end5:
	.size	_ZL18solve_tri_f32_fastILi64ELi10EEvPKfS1_Pf15HIP_vector_typeIjLj3EEmmmmmmii, .Lfunc_end5-_ZL18solve_tri_f32_fastILi64ELi10EEvPKfS1_Pf15HIP_vector_typeIjLj3EEmmmmmmii
                                        ; -- End function
	.section	.AMDGPU.csdata,"",@progbits
; Kernel info:
; codeLenInByte = 17084
; NumSgprs: 100
; NumVgprs: 19
; NumAgprs: 0
; TotalNumVgprs: 19
; ScratchSize: 0
; MemoryBound: 0
; FloatMode: 240
; IeeeMode: 1
; LDSByteSize: 16384 bytes/workgroup (compile time only)
; SGPRBlocks: 12
; VGPRBlocks: 2
; NumSGPRsForWavesPerEU: 100
; NumVGPRsForWavesPerEU: 19
; AccumOffset: 20
; Occupancy: 8
; WaveLimiterHint : 0
; COMPUTE_PGM_RSRC2:SCRATCH_EN: 0
; COMPUTE_PGM_RSRC2:USER_SGPR: 6
; COMPUTE_PGM_RSRC2:TRAP_HANDLER: 0
; COMPUTE_PGM_RSRC2:TGID_X_EN: 1
; COMPUTE_PGM_RSRC2:TGID_Y_EN: 0
; COMPUTE_PGM_RSRC2:TGID_Z_EN: 0
; COMPUTE_PGM_RSRC2:TIDIG_COMP_CNT: 1
; COMPUTE_PGM_RSRC3_GFX90A:ACCUM_OFFSET: 4
; COMPUTE_PGM_RSRC3_GFX90A:TG_SPLIT: 0
	.section	.text._ZL18solve_tri_f32_fastILi64ELi8EEvPKfS1_Pf15HIP_vector_typeIjLj3EEmmmmmmii,"axG",@progbits,_ZL18solve_tri_f32_fastILi64ELi8EEvPKfS1_Pf15HIP_vector_typeIjLj3EEmmmmmmii,comdat
	.globl	_ZL18solve_tri_f32_fastILi64ELi8EEvPKfS1_Pf15HIP_vector_typeIjLj3EEmmmmmmii ; -- Begin function _ZL18solve_tri_f32_fastILi64ELi8EEvPKfS1_Pf15HIP_vector_typeIjLj3EEmmmmmmii
	.p2align	8
	.type	_ZL18solve_tri_f32_fastILi64ELi8EEvPKfS1_Pf15HIP_vector_typeIjLj3EEmmmmmmii,@function
_ZL18solve_tri_f32_fastILi64ELi8EEvPKfS1_Pf15HIP_vector_typeIjLj3EEmmmmmmii: ; @_ZL18solve_tri_f32_fastILi64ELi8EEvPKfS1_Pf15HIP_vector_typeIjLj3EEmmmmmmii
; %bb.0:
	v_bfe_u32 v1, v0, 10, 10
	v_cmp_gt_u32_e32 vcc, 8, v1
	s_and_saveexec_b64 s[0:1], vcc
	s_cbranch_execz .LBB6_289
; %bb.1:
	s_load_dwordx4 s[0:3], s[4:5], 0x18
	s_load_dwordx2 s[16:17], s[4:5], 0x0
	s_load_dwordx8 s[8:15], s[4:5], 0x28
	v_and_b32_e32 v0, 0x3ff, v0
	s_waitcnt lgkmcnt(0)
	s_mul_hi_u32 s0, s0, s6
	s_add_i32 s0, s6, s0
	s_lshr_b32 s33, s0, s1
	s_mul_i32 s0, s33, s2
	s_sub_i32 s44, s6, s0
	s_mul_i32 s0, s44, s9
	s_mul_hi_u32 s1, s44, s8
	s_add_i32 s1, s1, s0
	s_mul_i32 s0, s44, s8
	s_lshl_b64 s[0:1], s[0:1], 2
	s_add_u32 s2, s16, s0
	s_load_dword s6, s[4:5], 0x6c
	s_addc_u32 s3, s17, s1
	s_mul_i32 s0, s33, s11
	s_mul_hi_u32 s1, s33, s10
	s_add_i32 s1, s1, s0
	s_mul_i32 s0, s33, s10
	s_lshl_b64 s[0:1], s[0:1], 2
	s_add_u32 s0, s2, s0
	s_addc_u32 s1, s3, s1
	s_waitcnt lgkmcnt(0)
	s_and_b32 s2, s6, 0xffff
	v_mad_u32_u24 v3, v1, s2, v0
	s_movk_i32 s2, 0x1000
	v_cmp_gt_u32_e32 vcc, s2, v3
	v_lshlrev_b32_e32 v2, 2, v3
	s_and_saveexec_b64 s[2:3], vcc
	s_cbranch_execz .LBB6_3
; %bb.2:
	global_load_dword v4, v2, s[0:1]
	s_waitcnt vmcnt(0)
	ds_write_b32 v2, v4
.LBB6_3:
	s_or_b64 exec, exec, s[2:3]
	s_movk_i32 s2, 0xf00
	v_cmp_gt_u32_e32 vcc, s2, v3
	s_and_saveexec_b64 s[2:3], vcc
	s_cbranch_execz .LBB6_5
; %bb.4:
	global_load_dword v4, v2, s[0:1] offset:1024
	s_waitcnt vmcnt(0)
	ds_write_b32 v2, v4 offset:1024
.LBB6_5:
	s_or_b64 exec, exec, s[2:3]
	s_movk_i32 s2, 0xe00
	v_cmp_gt_u32_e32 vcc, s2, v3
	s_and_saveexec_b64 s[2:3], vcc
	s_cbranch_execz .LBB6_7
; %bb.6:
	global_load_dword v4, v2, s[0:1] offset:2048
	s_waitcnt vmcnt(0)
	ds_write_b32 v2, v4 offset:2048
.LBB6_7:
	;; [unrolled: 10-line block ×3, first 2 shown]
	s_or_b64 exec, exec, s[2:3]
	s_movk_i32 s2, 0xc00
	v_cmp_gt_u32_e32 vcc, s2, v3
	s_and_saveexec_b64 s[2:3], vcc
	s_cbranch_execz .LBB6_11
; %bb.10:
	v_add_u32_e32 v4, 0x1000, v2
	global_load_dword v4, v4, s[0:1]
	s_waitcnt vmcnt(0)
	ds_write_b32 v2, v4 offset:4096
.LBB6_11:
	s_or_b64 exec, exec, s[2:3]
	s_movk_i32 s2, 0xb00
	v_cmp_gt_u32_e32 vcc, s2, v3
	s_and_saveexec_b64 s[2:3], vcc
	s_cbranch_execz .LBB6_13
; %bb.12:
	v_add_u32_e32 v4, 0x1400, v2
	global_load_dword v4, v4, s[0:1]
	s_waitcnt vmcnt(0)
	ds_write_b32 v2, v4 offset:5120
.LBB6_13:
	s_or_b64 exec, exec, s[2:3]
	s_movk_i32 s2, 0xa00
	v_cmp_gt_u32_e32 vcc, s2, v3
	s_and_saveexec_b64 s[2:3], vcc
	s_cbranch_execz .LBB6_15
; %bb.14:
	v_add_u32_e32 v4, 0x1800, v2
	global_load_dword v4, v4, s[0:1]
	s_waitcnt vmcnt(0)
	ds_write_b32 v2, v4 offset:6144
.LBB6_15:
	s_or_b64 exec, exec, s[2:3]
	s_movk_i32 s2, 0x900
	v_cmp_gt_u32_e32 vcc, s2, v3
	s_and_saveexec_b64 s[2:3], vcc
	s_cbranch_execz .LBB6_17
; %bb.16:
	v_add_u32_e32 v4, 0x1c00, v2
	global_load_dword v4, v4, s[0:1]
	s_waitcnt vmcnt(0)
	ds_write_b32 v2, v4 offset:7168
.LBB6_17:
	s_or_b64 exec, exec, s[2:3]
	s_movk_i32 s2, 0x800
	v_cmp_gt_u32_e32 vcc, s2, v3
	s_and_saveexec_b64 s[2:3], vcc
	s_cbranch_execz .LBB6_19
; %bb.18:
	v_or_b32_e32 v4, 0x2000, v2
	global_load_dword v4, v4, s[0:1]
	s_waitcnt vmcnt(0)
	ds_write_b32 v2, v4 offset:8192
.LBB6_19:
	s_or_b64 exec, exec, s[2:3]
	s_movk_i32 s2, 0x700
	v_cmp_gt_u32_e32 vcc, s2, v3
	s_and_saveexec_b64 s[2:3], vcc
	s_cbranch_execz .LBB6_21
; %bb.20:
	v_add_u32_e32 v4, 0x2400, v2
	global_load_dword v4, v4, s[0:1]
	s_waitcnt vmcnt(0)
	ds_write_b32 v2, v4 offset:9216
.LBB6_21:
	s_or_b64 exec, exec, s[2:3]
	s_movk_i32 s2, 0x600
	v_cmp_gt_u32_e32 vcc, s2, v3
	s_and_saveexec_b64 s[2:3], vcc
	s_cbranch_execz .LBB6_23
; %bb.22:
	v_add_u32_e32 v4, 0x2800, v2
	global_load_dword v4, v4, s[0:1]
	s_waitcnt vmcnt(0)
	ds_write_b32 v2, v4 offset:10240
.LBB6_23:
	s_or_b64 exec, exec, s[2:3]
	s_movk_i32 s2, 0x500
	v_cmp_gt_u32_e32 vcc, s2, v3
	s_and_saveexec_b64 s[2:3], vcc
	s_cbranch_execz .LBB6_25
; %bb.24:
	v_add_u32_e32 v4, 0x2c00, v2
	global_load_dword v4, v4, s[0:1]
	s_waitcnt vmcnt(0)
	ds_write_b32 v2, v4 offset:11264
.LBB6_25:
	s_or_b64 exec, exec, s[2:3]
	s_movk_i32 s2, 0x400
	v_cmp_gt_u32_e32 vcc, s2, v3
	s_and_saveexec_b64 s[2:3], vcc
	s_cbranch_execz .LBB6_27
; %bb.26:
	v_or_b32_e32 v4, 0x3000, v2
	global_load_dword v4, v4, s[0:1]
	s_waitcnt vmcnt(0)
	ds_write_b32 v2, v4 offset:12288
.LBB6_27:
	s_or_b64 exec, exec, s[2:3]
	s_load_dwordx4 s[8:11], s[4:5], 0x48
                                        ; implicit-def: $vgpr17 : SGPR spill to VGPR lane
	s_movk_i32 s2, 0x300
	v_cmp_gt_u32_e32 vcc, s2, v3
	s_waitcnt lgkmcnt(0)
	v_writelane_b32 v17, s8, 0
	v_writelane_b32 v17, s9, 1
	;; [unrolled: 1-line block ×4, first 2 shown]
	s_and_saveexec_b64 s[2:3], vcc
	s_cbranch_execz .LBB6_29
; %bb.28:
	v_add_u32_e32 v4, 0x3400, v2
	global_load_dword v4, v4, s[0:1]
	s_waitcnt vmcnt(0)
	ds_write_b32 v2, v4 offset:13312
.LBB6_29:
	s_or_b64 exec, exec, s[2:3]
	s_load_dwordx2 s[2:3], s[4:5], 0x8
	s_movk_i32 s6, 0x200
	v_cmp_gt_u32_e32 vcc, s6, v3
	s_and_saveexec_b64 s[6:7], vcc
	s_cbranch_execz .LBB6_31
; %bb.30:
	v_or_b32_e32 v4, 0x3800, v2
	global_load_dword v4, v4, s[0:1]
	s_waitcnt vmcnt(0)
	ds_write_b32 v2, v4 offset:14336
.LBB6_31:
	s_or_b64 exec, exec, s[6:7]
	s_movk_i32 s6, 0x100
	v_cmp_gt_u32_e32 vcc, s6, v3
	s_and_saveexec_b64 s[6:7], vcc
	s_cbranch_execz .LBB6_33
; %bb.32:
	v_or_b32_e32 v3, 0x3c00, v2
	global_load_dword v3, v3, s[0:1]
	s_waitcnt vmcnt(0)
	ds_write_b32 v2, v3 offset:15360
.LBB6_33:
	s_or_b64 exec, exec, s[6:7]
	s_mul_i32 s0, s44, s13
	s_mul_hi_u32 s1, s44, s12
	s_add_i32 s1, s1, s0
	s_mul_i32 s0, s44, s12
	s_mul_i32 s6, s33, s15
	s_mul_hi_u32 s7, s33, s14
	s_add_i32 s7, s7, s6
	s_lshl_b64 s[0:1], s[0:1], 2
	s_mul_i32 s6, s33, s14
	s_waitcnt lgkmcnt(0)
	s_add_u32 s2, s2, s0
	s_addc_u32 s3, s3, s1
	s_lshl_b64 s[0:1], s[6:7], 2
	s_add_u32 s0, s2, s0
	s_addc_u32 s1, s3, s1
	v_mov_b32_e32 v9, 0
	v_lshlrev_b32_e32 v1, 2, v1
	v_mov_b32_e32 v10, 0
	s_barrier
	v_cmp_gt_u32_e64 s[6:7], 64, v0
	s_mov_b64 s[2:3], exec
	v_writelane_b32 v17, s6, 4
	v_writelane_b32 v17, s7, 5
	s_and_b64 s[6:7], s[2:3], s[6:7]
	s_mov_b64 exec, s[6:7]
	s_cbranch_execz .LBB6_35
; %bb.34:
	v_lshl_or_b32 v2, v0, 5, v1
	global_load_dword v10, v2, s[0:1]
.LBB6_35:
	s_or_b64 exec, exec, s[2:3]
	v_add_u32_e32 v2, 32, v0
	v_cmp_gt_u32_e64 s[6:7], 32, v0
	s_mov_b64 s[2:3], exec
	v_writelane_b32 v17, s6, 6
	v_writelane_b32 v17, s7, 7
	s_and_b64 s[6:7], s[2:3], s[6:7]
	s_mov_b64 exec, s[6:7]
	s_cbranch_execz .LBB6_37
; %bb.36:
	v_lshl_or_b32 v3, v2, 5, v1
	global_load_dword v9, v3, s[0:1]
.LBB6_37:
	s_or_b64 exec, exec, s[2:3]
	v_mbcnt_lo_u32_b32 v3, -1, 0
	v_mbcnt_hi_u32_b32 v7, -1, v3
	v_and_b32_e32 v3, 0x60, v7
	v_add_u32_e32 v11, 32, v3
	v_xor_b32_e32 v3, 16, v7
	v_cmp_lt_i32_e32 vcc, v3, v11
	v_cndmask_b32_e32 v3, v7, v3, vcc
	v_mov_b32_e32 v8, 0
	v_lshlrev_b32_e32 v3, 2, v3
	ds_bpermute_b32 v5, v3, v8
	v_xor_b32_e32 v4, 8, v7
	v_cmp_lt_i32_e32 vcc, v4, v11
	v_cndmask_b32_e32 v4, v7, v4, vcc
	v_lshlrev_b32_e32 v4, 2, v4
	s_waitcnt lgkmcnt(0)
	v_add_f32_e32 v6, 0, v5
	ds_bpermute_b32 v12, v4, v6
	v_xor_b32_e32 v5, 4, v7
	v_cmp_lt_i32_e32 vcc, v5, v11
	v_cndmask_b32_e32 v5, v7, v5, vcc
	v_lshlrev_b32_e32 v5, 2, v5
	s_waitcnt lgkmcnt(0)
	v_add_f32_e32 v12, v6, v12
	;; [unrolled: 7-line block ×4, first 2 shown]
	ds_bpermute_b32 v12, v7, v11
	v_cmp_eq_u32_e64 s[6:7], 0, v0
	s_and_saveexec_b64 s[0:1], s[6:7]
	s_cbranch_execz .LBB6_39
; %bb.38:
	ds_read_b32 v13, v8
	s_waitcnt lgkmcnt(1)
	v_add_f32_e32 v11, v11, v12
	s_waitcnt vmcnt(0)
	v_sub_f32_e32 v10, v10, v11
	s_waitcnt lgkmcnt(0)
	v_div_scale_f32 v11, s[2:3], v13, v13, v10
	v_rcp_f32_e32 v12, v11
	v_div_scale_f32 v14, vcc, v10, v13, v10
	v_fma_f32 v15, -v11, v12, 1.0
	v_fmac_f32_e32 v12, v15, v12
	v_mul_f32_e32 v15, v14, v12
	v_fma_f32 v16, -v11, v15, v14
	v_fmac_f32_e32 v15, v16, v12
	v_fma_f32 v11, -v11, v15, v14
	v_div_fmas_f32 v11, v11, v12, v15
	v_div_fixup_f32 v10, v11, v13, v10
.LBB6_39:
	s_or_b64 exec, exec, s[0:1]
	ds_read_b32 v8, v8 offset:256
	v_cmp_eq_u32_e64 s[2:3], 1, v0
	s_waitcnt vmcnt(0) lgkmcnt(0)
	v_fma_f32 v8, v10, v8, 0
	v_cndmask_b32_e64 v8, 0, v8, s[6:7]
	ds_bpermute_b32 v11, v3, v8
	s_waitcnt lgkmcnt(0)
	v_add_f32_e32 v8, v8, v11
	ds_bpermute_b32 v11, v4, v8
	s_waitcnt lgkmcnt(0)
	v_add_f32_e32 v8, v8, v11
	;; [unrolled: 3-line block ×4, first 2 shown]
	ds_bpermute_b32 v11, v7, v8
	s_mov_b64 s[0:1], exec
	v_writelane_b32 v17, s2, 8
	v_writelane_b32 v17, s3, 9
	s_and_b64 s[2:3], s[0:1], s[2:3]
	s_mov_b64 exec, s[2:3]
	s_cbranch_execz .LBB6_41
; %bb.40:
	v_mov_b32_e32 v12, 0
	ds_read_b32 v12, v12 offset:260
	s_waitcnt lgkmcnt(1)
	v_add_f32_e32 v8, v8, v11
	v_sub_f32_e32 v8, v10, v8
	s_waitcnt lgkmcnt(0)
	v_div_scale_f32 v10, s[2:3], v12, v12, v8
	v_rcp_f32_e32 v11, v10
	v_div_scale_f32 v13, vcc, v8, v12, v8
	v_fma_f32 v14, -v10, v11, 1.0
	v_fmac_f32_e32 v11, v14, v11
	v_mul_f32_e32 v14, v13, v11
	v_fma_f32 v15, -v10, v14, v13
	v_fmac_f32_e32 v14, v15, v11
	v_fma_f32 v10, -v10, v14, v13
	v_div_fmas_f32 v10, v10, v11, v14
	v_div_fixup_f32 v10, v10, v12, v8
.LBB6_41:
	s_or_b64 exec, exec, s[0:1]
	s_waitcnt lgkmcnt(0)
	v_mov_b32_e32 v11, 0
	v_lshlrev_b32_e32 v8, 2, v0
	v_cmp_gt_u32_e64 s[2:3], 2, v0
	s_mov_b64 s[0:1], exec
	v_writelane_b32 v17, s2, 10
	v_writelane_b32 v17, s3, 11
	s_and_b64 s[2:3], s[0:1], s[2:3]
	s_mov_b64 exec, s[2:3]
	s_cbranch_execz .LBB6_43
; %bb.42:
	ds_read_b32 v11, v8 offset:512
	s_waitcnt lgkmcnt(0)
	v_fma_f32 v11, v10, v11, 0
.LBB6_43:
	s_or_b64 exec, exec, s[0:1]
	ds_bpermute_b32 v12, v3, v11
	v_cmp_eq_u32_e64 s[74:75], 2, v0
	s_waitcnt lgkmcnt(0)
	v_add_f32_e32 v11, v11, v12
	ds_bpermute_b32 v12, v4, v11
	s_waitcnt lgkmcnt(0)
	v_add_f32_e32 v11, v11, v12
	ds_bpermute_b32 v12, v5, v11
	s_waitcnt lgkmcnt(0)
	v_add_f32_e32 v11, v11, v12
	ds_bpermute_b32 v12, v6, v11
	s_waitcnt lgkmcnt(0)
	v_add_f32_e32 v11, v11, v12
	ds_bpermute_b32 v12, v7, v11
	s_and_saveexec_b64 s[0:1], s[74:75]
	s_cbranch_execz .LBB6_45
; %bb.44:
	v_mov_b32_e32 v13, 0
	ds_read_b32 v13, v13 offset:520
	s_waitcnt lgkmcnt(1)
	v_add_f32_e32 v11, v11, v12
	v_sub_f32_e32 v10, v10, v11
	s_waitcnt lgkmcnt(0)
	v_div_scale_f32 v11, s[2:3], v13, v13, v10
	v_rcp_f32_e32 v12, v11
	v_div_scale_f32 v14, vcc, v10, v13, v10
	v_fma_f32 v15, -v11, v12, 1.0
	v_fmac_f32_e32 v12, v15, v12
	v_mul_f32_e32 v15, v14, v12
	v_fma_f32 v16, -v11, v15, v14
	v_fmac_f32_e32 v15, v16, v12
	v_fma_f32 v11, -v11, v15, v14
	v_div_fmas_f32 v11, v11, v12, v15
	v_div_fixup_f32 v10, v11, v13, v10
.LBB6_45:
	s_or_b64 exec, exec, s[0:1]
	v_mov_b32_e32 v11, 0
	v_cmp_gt_u32_e64 s[2:3], 3, v0
	s_mov_b64 s[0:1], exec
	v_writelane_b32 v17, s2, 12
	v_writelane_b32 v17, s3, 13
	s_and_b64 s[2:3], s[0:1], s[2:3]
	s_mov_b64 exec, s[2:3]
	s_cbranch_execz .LBB6_47
; %bb.46:
	ds_read_b32 v11, v8 offset:768
	s_waitcnt lgkmcnt(0)
	v_fma_f32 v11, v10, v11, 0
.LBB6_47:
	s_or_b64 exec, exec, s[0:1]
	s_waitcnt lgkmcnt(0)
	ds_bpermute_b32 v12, v3, v11
	v_cmp_eq_u32_e64 s[76:77], 3, v0
	s_waitcnt lgkmcnt(0)
	v_add_f32_e32 v11, v11, v12
	ds_bpermute_b32 v12, v4, v11
	s_waitcnt lgkmcnt(0)
	v_add_f32_e32 v11, v11, v12
	ds_bpermute_b32 v12, v5, v11
	s_waitcnt lgkmcnt(0)
	v_add_f32_e32 v11, v11, v12
	ds_bpermute_b32 v12, v6, v11
	s_waitcnt lgkmcnt(0)
	v_add_f32_e32 v11, v11, v12
	ds_bpermute_b32 v12, v7, v11
	s_and_saveexec_b64 s[0:1], s[76:77]
	s_cbranch_execz .LBB6_49
; %bb.48:
	v_mov_b32_e32 v13, 0
	ds_read_b32 v13, v13 offset:780
	s_waitcnt lgkmcnt(1)
	v_add_f32_e32 v11, v11, v12
	v_sub_f32_e32 v10, v10, v11
	s_waitcnt lgkmcnt(0)
	v_div_scale_f32 v11, s[2:3], v13, v13, v10
	v_rcp_f32_e32 v12, v11
	v_div_scale_f32 v14, vcc, v10, v13, v10
	v_fma_f32 v15, -v11, v12, 1.0
	v_fmac_f32_e32 v12, v15, v12
	v_mul_f32_e32 v15, v14, v12
	v_fma_f32 v16, -v11, v15, v14
	v_fmac_f32_e32 v15, v16, v12
	v_fma_f32 v11, -v11, v15, v14
	v_div_fmas_f32 v11, v11, v12, v15
	v_div_fixup_f32 v10, v11, v13, v10
.LBB6_49:
	s_or_b64 exec, exec, s[0:1]
	v_mov_b32_e32 v11, 0
	v_cmp_gt_u32_e64 s[2:3], 4, v0
	s_mov_b64 s[0:1], exec
	v_writelane_b32 v17, s2, 14
	v_writelane_b32 v17, s3, 15
	s_and_b64 s[2:3], s[0:1], s[2:3]
	s_mov_b64 exec, s[2:3]
	s_cbranch_execz .LBB6_51
; %bb.50:
	ds_read_b32 v11, v8 offset:1024
	s_waitcnt lgkmcnt(0)
	v_fma_f32 v11, v10, v11, 0
.LBB6_51:
	s_or_b64 exec, exec, s[0:1]
	s_waitcnt lgkmcnt(0)
	;; [unrolled: 51-line block ×14, first 2 shown]
	ds_bpermute_b32 v12, v3, v11
	v_cmp_eq_u32_e64 s[10:11], 16, v0
	s_waitcnt lgkmcnt(0)
	v_add_f32_e32 v11, v11, v12
	ds_bpermute_b32 v12, v4, v11
	s_waitcnt lgkmcnt(0)
	v_add_f32_e32 v11, v11, v12
	ds_bpermute_b32 v12, v5, v11
	s_waitcnt lgkmcnt(0)
	v_add_f32_e32 v11, v11, v12
	ds_bpermute_b32 v12, v6, v11
	s_waitcnt lgkmcnt(0)
	v_add_f32_e32 v11, v11, v12
	ds_bpermute_b32 v12, v7, v11
	s_and_saveexec_b64 s[12:13], s[10:11]
	s_cbranch_execz .LBB6_101
; %bb.100:
	v_mov_b32_e32 v13, 0
	ds_read_b32 v13, v13 offset:4160
	s_waitcnt lgkmcnt(1)
	v_add_f32_e32 v11, v11, v12
	v_sub_f32_e32 v10, v10, v11
	s_waitcnt lgkmcnt(0)
	v_div_scale_f32 v11, s[14:15], v13, v13, v10
	v_rcp_f32_e32 v12, v11
	v_div_scale_f32 v14, vcc, v10, v13, v10
	v_fma_f32 v15, -v11, v12, 1.0
	v_fmac_f32_e32 v12, v15, v12
	v_mul_f32_e32 v15, v14, v12
	v_fma_f32 v16, -v11, v15, v14
	v_fmac_f32_e32 v15, v16, v12
	v_fma_f32 v11, -v11, v15, v14
	v_div_fmas_f32 v11, v11, v12, v15
	v_div_fixup_f32 v10, v11, v13, v10
.LBB6_101:
	s_or_b64 exec, exec, s[12:13]
	v_cmp_gt_u32_e64 s[46:47], 17, v0
	v_mov_b32_e32 v11, 0
	s_and_saveexec_b64 s[12:13], s[46:47]
	s_cbranch_execz .LBB6_103
; %bb.102:
	ds_read_b32 v11, v8 offset:4352
	s_waitcnt lgkmcnt(0)
	v_fma_f32 v11, v10, v11, 0
.LBB6_103:
	s_or_b64 exec, exec, s[12:13]
	s_waitcnt lgkmcnt(0)
	ds_bpermute_b32 v12, v3, v11
	v_cmp_eq_u32_e64 s[12:13], 17, v0
	s_waitcnt lgkmcnt(0)
	v_add_f32_e32 v11, v11, v12
	ds_bpermute_b32 v12, v4, v11
	s_waitcnt lgkmcnt(0)
	v_add_f32_e32 v11, v11, v12
	ds_bpermute_b32 v12, v5, v11
	s_waitcnt lgkmcnt(0)
	v_add_f32_e32 v11, v11, v12
	ds_bpermute_b32 v12, v6, v11
	s_waitcnt lgkmcnt(0)
	v_add_f32_e32 v11, v11, v12
	ds_bpermute_b32 v12, v7, v11
	s_and_saveexec_b64 s[14:15], s[12:13]
	s_cbranch_execz .LBB6_105
; %bb.104:
	v_mov_b32_e32 v13, 0
	ds_read_b32 v13, v13 offset:4420
	s_waitcnt lgkmcnt(1)
	v_add_f32_e32 v11, v11, v12
	v_sub_f32_e32 v10, v10, v11
	s_waitcnt lgkmcnt(0)
	v_div_scale_f32 v11, s[16:17], v13, v13, v10
	v_rcp_f32_e32 v12, v11
	v_div_scale_f32 v14, vcc, v10, v13, v10
	v_fma_f32 v15, -v11, v12, 1.0
	v_fmac_f32_e32 v12, v15, v12
	v_mul_f32_e32 v15, v14, v12
	v_fma_f32 v16, -v11, v15, v14
	v_fmac_f32_e32 v15, v16, v12
	v_fma_f32 v11, -v11, v15, v14
	v_div_fmas_f32 v11, v11, v12, v15
	v_div_fixup_f32 v10, v11, v13, v10
.LBB6_105:
	s_or_b64 exec, exec, s[14:15]
	v_cmp_gt_u32_e64 s[48:49], 18, v0
	v_mov_b32_e32 v11, 0
	s_and_saveexec_b64 s[14:15], s[48:49]
	s_cbranch_execz .LBB6_107
; %bb.106:
	ds_read_b32 v11, v8 offset:4608
	s_waitcnt lgkmcnt(0)
	v_fma_f32 v11, v10, v11, 0
.LBB6_107:
	s_or_b64 exec, exec, s[14:15]
	s_waitcnt lgkmcnt(0)
	;; [unrolled: 47-line block ×14, first 2 shown]
	ds_bpermute_b32 v12, v3, v11
	v_cmp_eq_u32_e64 s[40:41], 30, v0
	s_waitcnt lgkmcnt(0)
	v_add_f32_e32 v11, v11, v12
	ds_bpermute_b32 v12, v4, v11
	s_waitcnt lgkmcnt(0)
	v_add_f32_e32 v11, v11, v12
	ds_bpermute_b32 v12, v5, v11
	;; [unrolled: 3-line block ×4, first 2 shown]
	s_and_saveexec_b64 s[42:43], s[40:41]
	s_cbranch_execz .LBB6_157
; %bb.156:
	v_mov_b32_e32 v13, 0
	ds_read_b32 v13, v13 offset:7800
	s_waitcnt lgkmcnt(1)
	v_add_f32_e32 v11, v11, v12
	v_sub_f32_e32 v10, v10, v11
	s_waitcnt lgkmcnt(0)
	v_div_scale_f32 v11, vcc, v13, v13, v10
	v_rcp_f32_e32 v12, v11
	v_div_scale_f32 v14, vcc, v10, v13, v10
	v_fma_f32 v15, -v11, v12, 1.0
	v_fmac_f32_e32 v12, v15, v12
	v_mul_f32_e32 v15, v14, v12
	v_fma_f32 v16, -v11, v15, v14
	v_fmac_f32_e32 v15, v16, v12
	v_fma_f32 v11, -v11, v15, v14
	v_div_fmas_f32 v11, v11, v12, v15
	v_div_fixup_f32 v10, v11, v13, v10
.LBB6_157:
	s_or_b64 exec, exec, s[42:43]
	v_mov_b32_e32 v11, 0
	v_cmp_gt_u32_e32 vcc, 31, v0
	s_mov_b64 s[42:43], exec
	v_writelane_b32 v17, vcc_lo, 40
	v_writelane_b32 v17, vcc_hi, 41
	s_and_b64 vcc, s[42:43], vcc
	s_mov_b64 exec, vcc
	s_cbranch_execz .LBB6_159
; %bb.158:
	ds_read_b32 v11, v8 offset:7936
	s_waitcnt lgkmcnt(0)
	v_fma_f32 v11, v10, v11, 0
.LBB6_159:
	s_or_b64 exec, exec, s[42:43]
	s_waitcnt lgkmcnt(0)
	ds_bpermute_b32 v12, v3, v11
	v_cmp_eq_u32_e32 vcc, 31, v0
	s_waitcnt lgkmcnt(0)
	v_add_f32_e32 v11, v11, v12
	ds_bpermute_b32 v12, v4, v11
	s_waitcnt lgkmcnt(0)
	v_add_f32_e32 v11, v11, v12
	ds_bpermute_b32 v12, v5, v11
	;; [unrolled: 3-line block ×4, first 2 shown]
	s_mov_b64 s[42:43], exec
	v_writelane_b32 v17, vcc_lo, 42
	v_writelane_b32 v17, vcc_hi, 43
	s_and_b64 vcc, s[42:43], vcc
	s_mov_b64 exec, vcc
	s_cbranch_execz .LBB6_161
; %bb.160:
	v_mov_b32_e32 v13, 0
	ds_read_b32 v13, v13 offset:8060
	s_waitcnt lgkmcnt(1)
	v_add_f32_e32 v11, v11, v12
	v_sub_f32_e32 v10, v10, v11
	s_waitcnt lgkmcnt(0)
	v_div_scale_f32 v11, vcc, v13, v13, v10
	v_rcp_f32_e32 v12, v11
	v_div_scale_f32 v14, vcc, v10, v13, v10
	v_fma_f32 v15, -v11, v12, 1.0
	v_fmac_f32_e32 v12, v15, v12
	v_mul_f32_e32 v15, v14, v12
	v_fma_f32 v16, -v11, v15, v14
	v_fmac_f32_e32 v15, v16, v12
	v_fma_f32 v11, -v11, v15, v14
	v_div_fmas_f32 v11, v11, v12, v15
	v_div_fixup_f32 v10, v11, v13, v10
.LBB6_161:
	s_or_b64 exec, exec, s[42:43]
	ds_read_b32 v11, v8 offset:8192
	s_waitcnt lgkmcnt(0)
	v_mul_f32_e32 v12, v10, v11
	ds_bpermute_b32 v12, v3, v12
	s_waitcnt lgkmcnt(0)
	v_fmac_f32_e32 v12, v10, v11
	ds_bpermute_b32 v11, v4, v12
	s_waitcnt lgkmcnt(0)
	v_add_f32_e32 v11, v12, v11
	ds_bpermute_b32 v12, v5, v11
	s_waitcnt lgkmcnt(0)
	v_add_f32_e32 v11, v11, v12
	;; [unrolled: 3-line block ×3, first 2 shown]
	ds_bpermute_b32 v12, v7, v11
	s_and_saveexec_b64 s[42:43], s[6:7]
	s_cbranch_execz .LBB6_163
; %bb.162:
	v_mov_b32_e32 v13, 0
	ds_read_b32 v13, v13 offset:8320
	s_waitcnt lgkmcnt(1)
	v_add_f32_e32 v11, v11, v12
	v_sub_f32_e32 v9, v9, v11
	s_waitcnt lgkmcnt(0)
	v_div_scale_f32 v11, vcc, v13, v13, v9
	v_rcp_f32_e32 v12, v11
	v_div_scale_f32 v14, vcc, v9, v13, v9
	v_fma_f32 v15, -v11, v12, 1.0
	v_fmac_f32_e32 v12, v15, v12
	v_mul_f32_e32 v15, v14, v12
	v_fma_f32 v16, -v11, v15, v14
	v_fmac_f32_e32 v15, v16, v12
	v_fma_f32 v11, -v11, v15, v14
	v_div_fmas_f32 v11, v11, v12, v15
	v_div_fixup_f32 v9, v11, v13, v9
.LBB6_163:
	s_or_b64 exec, exec, s[42:43]
	v_mov_b32_e32 v11, 0
	s_waitcnt lgkmcnt(0)
	ds_read_b32 v12, v8 offset:8448
	ds_read_b32 v13, v11 offset:8576
	s_waitcnt lgkmcnt(1)
	v_mul_f32_e32 v12, v10, v12
	s_waitcnt lgkmcnt(0)
	v_fma_f32 v13, v9, v13, v12
	v_cndmask_b32_e64 v12, v12, v13, s[6:7]
	ds_bpermute_b32 v13, v3, v12
	s_waitcnt lgkmcnt(0)
	v_add_f32_e32 v12, v12, v13
	ds_bpermute_b32 v13, v4, v12
	s_waitcnt lgkmcnt(0)
	v_add_f32_e32 v12, v12, v13
	;; [unrolled: 3-line block ×4, first 2 shown]
	ds_bpermute_b32 v13, v7, v12
	s_mov_b64 s[6:7], exec
	v_readlane_b32 s42, v17, 8
	v_readlane_b32 s43, v17, 9
	s_and_b64 s[42:43], s[6:7], s[42:43]
	s_mov_b64 exec, s[42:43]
	s_cbranch_execz .LBB6_165
; %bb.164:
	ds_read_b32 v11, v11 offset:8580
	s_waitcnt lgkmcnt(1)
	v_add_f32_e32 v12, v12, v13
	v_sub_f32_e32 v9, v9, v12
	s_waitcnt lgkmcnt(0)
	v_div_scale_f32 v12, s[42:43], v11, v11, v9
	v_rcp_f32_e32 v13, v12
	v_div_scale_f32 v14, vcc, v9, v11, v9
	v_fma_f32 v15, -v12, v13, 1.0
	v_fmac_f32_e32 v13, v15, v13
	v_mul_f32_e32 v15, v14, v13
	v_fma_f32 v16, -v12, v15, v14
	v_fmac_f32_e32 v15, v16, v13
	v_fma_f32 v12, -v12, v15, v14
	v_div_fmas_f32 v12, v12, v13, v15
	v_div_fixup_f32 v9, v12, v11, v9
.LBB6_165:
	s_or_b64 exec, exec, s[6:7]
	ds_read_b32 v11, v8 offset:8704
	s_waitcnt lgkmcnt(0)
	v_mul_f32_e32 v11, v10, v11
	s_mov_b64 s[6:7], exec
	v_readlane_b32 s42, v17, 10
	v_readlane_b32 s43, v17, 11
	s_and_b64 s[42:43], s[6:7], s[42:43]
	s_mov_b64 exec, s[42:43]
	s_cbranch_execz .LBB6_167
; %bb.166:
	ds_read_b32 v12, v8 offset:8832
	s_waitcnt lgkmcnt(0)
	v_fmac_f32_e32 v11, v9, v12
.LBB6_167:
	s_or_b64 exec, exec, s[6:7]
	ds_bpermute_b32 v12, v3, v11
	s_waitcnt lgkmcnt(0)
	v_add_f32_e32 v11, v11, v12
	ds_bpermute_b32 v12, v4, v11
	s_waitcnt lgkmcnt(0)
	v_add_f32_e32 v11, v11, v12
	ds_bpermute_b32 v12, v5, v11
	s_waitcnt lgkmcnt(0)
	v_add_f32_e32 v11, v11, v12
	ds_bpermute_b32 v12, v6, v11
	s_waitcnt lgkmcnt(0)
	v_add_f32_e32 v11, v11, v12
	ds_bpermute_b32 v12, v7, v11
	s_and_saveexec_b64 s[6:7], s[74:75]
	s_cbranch_execz .LBB6_169
; %bb.168:
	v_mov_b32_e32 v13, 0
	ds_read_b32 v13, v13 offset:8840
	s_waitcnt lgkmcnt(1)
	v_add_f32_e32 v11, v11, v12
	v_sub_f32_e32 v9, v9, v11
	s_waitcnt lgkmcnt(0)
	v_div_scale_f32 v11, s[42:43], v13, v13, v9
	v_rcp_f32_e32 v12, v11
	v_div_scale_f32 v14, vcc, v9, v13, v9
	v_fma_f32 v15, -v11, v12, 1.0
	v_fmac_f32_e32 v12, v15, v12
	v_mul_f32_e32 v15, v14, v12
	v_fma_f32 v16, -v11, v15, v14
	v_fmac_f32_e32 v15, v16, v12
	v_fma_f32 v11, -v11, v15, v14
	v_div_fmas_f32 v11, v11, v12, v15
	v_div_fixup_f32 v9, v11, v13, v9
.LBB6_169:
	s_or_b64 exec, exec, s[6:7]
	ds_read_b32 v11, v8 offset:8960
	s_waitcnt lgkmcnt(0)
	v_mul_f32_e32 v11, v10, v11
	s_mov_b64 s[6:7], exec
	v_readlane_b32 s42, v17, 12
	v_readlane_b32 s43, v17, 13
	s_and_b64 s[42:43], s[6:7], s[42:43]
	s_mov_b64 exec, s[42:43]
	s_cbranch_execz .LBB6_171
; %bb.170:
	ds_read_b32 v12, v8 offset:9088
	s_waitcnt lgkmcnt(0)
	v_fmac_f32_e32 v11, v9, v12
.LBB6_171:
	s_or_b64 exec, exec, s[6:7]
	ds_bpermute_b32 v12, v3, v11
	s_waitcnt lgkmcnt(0)
	v_add_f32_e32 v11, v11, v12
	ds_bpermute_b32 v12, v4, v11
	s_waitcnt lgkmcnt(0)
	v_add_f32_e32 v11, v11, v12
	ds_bpermute_b32 v12, v5, v11
	s_waitcnt lgkmcnt(0)
	v_add_f32_e32 v11, v11, v12
	ds_bpermute_b32 v12, v6, v11
	s_waitcnt lgkmcnt(0)
	v_add_f32_e32 v11, v11, v12
	ds_bpermute_b32 v12, v7, v11
	s_and_saveexec_b64 s[6:7], s[76:77]
	s_cbranch_execz .LBB6_173
; %bb.172:
	v_mov_b32_e32 v13, 0
	ds_read_b32 v13, v13 offset:9100
	s_waitcnt lgkmcnt(1)
	v_add_f32_e32 v11, v11, v12
	v_sub_f32_e32 v9, v9, v11
	s_waitcnt lgkmcnt(0)
	v_div_scale_f32 v11, s[42:43], v13, v13, v9
	v_rcp_f32_e32 v12, v11
	v_div_scale_f32 v14, vcc, v9, v13, v9
	v_fma_f32 v15, -v11, v12, 1.0
	v_fmac_f32_e32 v12, v15, v12
	v_mul_f32_e32 v15, v14, v12
	v_fma_f32 v16, -v11, v15, v14
	v_fmac_f32_e32 v15, v16, v12
	v_fma_f32 v11, -v11, v15, v14
	v_div_fmas_f32 v11, v11, v12, v15
	v_div_fixup_f32 v9, v11, v13, v9
.LBB6_173:
	;; [unrolled: 50-line block ×15, first 2 shown]
	s_or_b64 exec, exec, s[0:1]
	ds_read_b32 v11, v8 offset:12544
	s_waitcnt lgkmcnt(0)
	v_mul_f32_e32 v11, v10, v11
	s_and_saveexec_b64 s[0:1], s[46:47]
	s_cbranch_execz .LBB6_227
; %bb.226:
	ds_read_b32 v12, v8 offset:12672
	s_waitcnt lgkmcnt(0)
	v_fmac_f32_e32 v11, v9, v12
.LBB6_227:
	s_or_b64 exec, exec, s[0:1]
	ds_bpermute_b32 v12, v3, v11
	s_waitcnt lgkmcnt(0)
	v_add_f32_e32 v11, v11, v12
	ds_bpermute_b32 v12, v4, v11
	s_waitcnt lgkmcnt(0)
	v_add_f32_e32 v11, v11, v12
	ds_bpermute_b32 v12, v5, v11
	s_waitcnt lgkmcnt(0)
	v_add_f32_e32 v11, v11, v12
	ds_bpermute_b32 v12, v6, v11
	s_waitcnt lgkmcnt(0)
	v_add_f32_e32 v11, v11, v12
	ds_bpermute_b32 v12, v7, v11
	s_and_saveexec_b64 s[0:1], s[12:13]
	s_cbranch_execz .LBB6_229
; %bb.228:
	v_mov_b32_e32 v13, 0
	ds_read_b32 v13, v13 offset:12740
	s_waitcnt lgkmcnt(1)
	v_add_f32_e32 v11, v11, v12
	v_sub_f32_e32 v9, v9, v11
	s_waitcnt lgkmcnt(0)
	v_div_scale_f32 v11, s[2:3], v13, v13, v9
	v_rcp_f32_e32 v12, v11
	v_div_scale_f32 v14, vcc, v9, v13, v9
	v_fma_f32 v15, -v11, v12, 1.0
	v_fmac_f32_e32 v12, v15, v12
	v_mul_f32_e32 v15, v14, v12
	v_fma_f32 v16, -v11, v15, v14
	v_fmac_f32_e32 v15, v16, v12
	v_fma_f32 v11, -v11, v15, v14
	v_div_fmas_f32 v11, v11, v12, v15
	v_div_fixup_f32 v9, v11, v13, v9
.LBB6_229:
	s_or_b64 exec, exec, s[0:1]
	ds_read_b32 v11, v8 offset:12800
	s_waitcnt lgkmcnt(0)
	v_mul_f32_e32 v11, v10, v11
	s_and_saveexec_b64 s[0:1], s[48:49]
	s_cbranch_execz .LBB6_231
; %bb.230:
	ds_read_b32 v12, v8 offset:12928
	s_waitcnt lgkmcnt(0)
	v_fmac_f32_e32 v11, v9, v12
.LBB6_231:
	s_or_b64 exec, exec, s[0:1]
	ds_bpermute_b32 v12, v3, v11
	s_waitcnt lgkmcnt(0)
	v_add_f32_e32 v11, v11, v12
	ds_bpermute_b32 v12, v4, v11
	s_waitcnt lgkmcnt(0)
	v_add_f32_e32 v11, v11, v12
	ds_bpermute_b32 v12, v5, v11
	s_waitcnt lgkmcnt(0)
	v_add_f32_e32 v11, v11, v12
	ds_bpermute_b32 v12, v6, v11
	s_waitcnt lgkmcnt(0)
	v_add_f32_e32 v11, v11, v12
	ds_bpermute_b32 v12, v7, v11
	s_and_saveexec_b64 s[0:1], s[14:15]
	s_cbranch_execz .LBB6_233
; %bb.232:
	v_mov_b32_e32 v13, 0
	ds_read_b32 v13, v13 offset:13000
	s_waitcnt lgkmcnt(1)
	v_add_f32_e32 v11, v11, v12
	v_sub_f32_e32 v9, v9, v11
	s_waitcnt lgkmcnt(0)
	v_div_scale_f32 v11, s[2:3], v13, v13, v9
	v_rcp_f32_e32 v12, v11
	v_div_scale_f32 v14, vcc, v9, v13, v9
	v_fma_f32 v15, -v11, v12, 1.0
	v_fmac_f32_e32 v12, v15, v12
	v_mul_f32_e32 v15, v14, v12
	v_fma_f32 v16, -v11, v15, v14
	v_fmac_f32_e32 v15, v16, v12
	v_fma_f32 v11, -v11, v15, v14
	v_div_fmas_f32 v11, v11, v12, v15
	v_div_fixup_f32 v9, v11, v13, v9
.LBB6_233:
	;; [unrolled: 46-line block ×14, first 2 shown]
	s_or_b64 exec, exec, s[0:1]
	ds_read_b32 v11, v8 offset:16128
	s_load_dwordx2 s[0:1], s[4:5], 0x10
	s_waitcnt lgkmcnt(0)
	v_mul_f32_e32 v11, v10, v11
	s_mov_b64 s[2:3], exec
	v_readlane_b32 s4, v17, 40
	v_readlane_b32 s5, v17, 41
	s_and_b64 s[4:5], s[2:3], s[4:5]
	s_mov_b64 exec, s[4:5]
	s_cbranch_execz .LBB6_283
; %bb.282:
	ds_read_b32 v8, v8 offset:16256
	s_waitcnt lgkmcnt(0)
	v_fmac_f32_e32 v11, v9, v8
.LBB6_283:
	s_or_b64 exec, exec, s[2:3]
	ds_bpermute_b32 v3, v3, v11
	s_waitcnt lgkmcnt(0)
	v_add_f32_e32 v3, v11, v3
	ds_bpermute_b32 v4, v4, v3
	s_waitcnt lgkmcnt(0)
	v_add_f32_e32 v3, v3, v4
	;; [unrolled: 3-line block ×4, first 2 shown]
	ds_bpermute_b32 v4, v7, v3
	s_mov_b64 s[2:3], exec
	v_readlane_b32 s4, v17, 42
	v_readlane_b32 s5, v17, 43
	s_and_b64 s[4:5], s[2:3], s[4:5]
	s_mov_b64 exec, s[4:5]
	s_cbranch_execz .LBB6_285
; %bb.284:
	v_mov_b32_e32 v5, 0
	ds_read_b32 v5, v5 offset:16380
	s_waitcnt lgkmcnt(1)
	v_add_f32_e32 v3, v3, v4
	v_sub_f32_e32 v3, v9, v3
	s_waitcnt lgkmcnt(0)
	v_div_scale_f32 v4, s[4:5], v5, v5, v3
	v_rcp_f32_e32 v6, v4
	v_div_scale_f32 v7, vcc, v3, v5, v3
	v_fma_f32 v8, -v4, v6, 1.0
	v_fmac_f32_e32 v6, v8, v6
	v_mul_f32_e32 v8, v7, v6
	v_fma_f32 v9, -v4, v8, v7
	v_fmac_f32_e32 v8, v9, v6
	v_fma_f32 v4, -v4, v8, v7
	v_div_fmas_f32 v4, v4, v6, v8
	v_div_fixup_f32 v9, v4, v5, v3
.LBB6_285:
	s_or_b64 exec, exec, s[2:3]
	v_readlane_b32 s4, v17, 0
	v_readlane_b32 s5, v17, 1
	;; [unrolled: 1-line block ×4, first 2 shown]
	s_mul_i32 s2, s44, s5
	s_mul_hi_u32 s3, s44, s4
	s_add_i32 s3, s3, s2
	s_mul_i32 s2, s44, s4
	s_mul_i32 s4, s33, s7
	s_mul_hi_u32 s5, s33, s6
	s_add_i32 s5, s5, s4
	s_lshl_b64 s[2:3], s[2:3], 2
	s_mul_i32 s4, s33, s6
	s_add_u32 s2, s0, s2
	s_addc_u32 s3, s1, s3
	s_lshl_b64 s[0:1], s[4:5], 2
	s_add_u32 s0, s2, s0
	s_addc_u32 s1, s3, s1
	s_mov_b64 s[2:3], exec
	v_readlane_b32 s4, v17, 4
	v_readlane_b32 s5, v17, 5
	s_and_b64 s[4:5], s[2:3], s[4:5]
	s_mov_b64 exec, s[4:5]
	s_cbranch_execz .LBB6_287
; %bb.286:
	v_readlane_b32 s4, v17, 6
	v_readlane_b32 s5, v17, 7
	v_lshl_or_b32 v0, v0, 5, v1
	v_cndmask_b32_e64 v3, v9, v10, s[4:5]
	global_store_dword v0, v3, s[0:1]
.LBB6_287:
	s_or_b64 exec, exec, s[2:3]
	v_readlane_b32 s2, v17, 6
	v_readlane_b32 s3, v17, 7
	s_and_b64 exec, exec, s[2:3]
	s_cbranch_execz .LBB6_289
; %bb.288:
	v_lshl_or_b32 v0, v2, 5, v1
	global_store_dword v0, v9, s[0:1]
.LBB6_289:
	s_endpgm
	.section	.rodata,"a",@progbits
	.p2align	6, 0x0
	.amdhsa_kernel _ZL18solve_tri_f32_fastILi64ELi8EEvPKfS1_Pf15HIP_vector_typeIjLj3EEmmmmmmii
		.amdhsa_group_segment_fixed_size 16384
		.amdhsa_private_segment_fixed_size 0
		.amdhsa_kernarg_size 352
		.amdhsa_user_sgpr_count 6
		.amdhsa_user_sgpr_private_segment_buffer 1
		.amdhsa_user_sgpr_dispatch_ptr 0
		.amdhsa_user_sgpr_queue_ptr 0
		.amdhsa_user_sgpr_kernarg_segment_ptr 1
		.amdhsa_user_sgpr_dispatch_id 0
		.amdhsa_user_sgpr_flat_scratch_init 0
		.amdhsa_user_sgpr_kernarg_preload_length 0
		.amdhsa_user_sgpr_kernarg_preload_offset 0
		.amdhsa_user_sgpr_private_segment_size 0
		.amdhsa_uses_dynamic_stack 0
		.amdhsa_system_sgpr_private_segment_wavefront_offset 0
		.amdhsa_system_sgpr_workgroup_id_x 1
		.amdhsa_system_sgpr_workgroup_id_y 0
		.amdhsa_system_sgpr_workgroup_id_z 0
		.amdhsa_system_sgpr_workgroup_info 0
		.amdhsa_system_vgpr_workitem_id 1
		.amdhsa_next_free_vgpr 18
		.amdhsa_next_free_sgpr 96
		.amdhsa_accum_offset 20
		.amdhsa_reserve_vcc 1
		.amdhsa_reserve_flat_scratch 0
		.amdhsa_float_round_mode_32 0
		.amdhsa_float_round_mode_16_64 0
		.amdhsa_float_denorm_mode_32 3
		.amdhsa_float_denorm_mode_16_64 3
		.amdhsa_dx10_clamp 1
		.amdhsa_ieee_mode 1
		.amdhsa_fp16_overflow 0
		.amdhsa_tg_split 0
		.amdhsa_exception_fp_ieee_invalid_op 0
		.amdhsa_exception_fp_denorm_src 0
		.amdhsa_exception_fp_ieee_div_zero 0
		.amdhsa_exception_fp_ieee_overflow 0
		.amdhsa_exception_fp_ieee_underflow 0
		.amdhsa_exception_fp_ieee_inexact 0
		.amdhsa_exception_int_div_zero 0
	.end_amdhsa_kernel
	.section	.text._ZL18solve_tri_f32_fastILi64ELi8EEvPKfS1_Pf15HIP_vector_typeIjLj3EEmmmmmmii,"axG",@progbits,_ZL18solve_tri_f32_fastILi64ELi8EEvPKfS1_Pf15HIP_vector_typeIjLj3EEmmmmmmii,comdat
.Lfunc_end6:
	.size	_ZL18solve_tri_f32_fastILi64ELi8EEvPKfS1_Pf15HIP_vector_typeIjLj3EEmmmmmmii, .Lfunc_end6-_ZL18solve_tri_f32_fastILi64ELi8EEvPKfS1_Pf15HIP_vector_typeIjLj3EEmmmmmmii
                                        ; -- End function
	.section	.AMDGPU.csdata,"",@progbits
; Kernel info:
; codeLenInByte = 17224
; NumSgprs: 100
; NumVgprs: 18
; NumAgprs: 0
; TotalNumVgprs: 18
; ScratchSize: 0
; MemoryBound: 0
; FloatMode: 240
; IeeeMode: 1
; LDSByteSize: 16384 bytes/workgroup (compile time only)
; SGPRBlocks: 12
; VGPRBlocks: 2
; NumSGPRsForWavesPerEU: 100
; NumVGPRsForWavesPerEU: 18
; AccumOffset: 20
; Occupancy: 8
; WaveLimiterHint : 0
; COMPUTE_PGM_RSRC2:SCRATCH_EN: 0
; COMPUTE_PGM_RSRC2:USER_SGPR: 6
; COMPUTE_PGM_RSRC2:TRAP_HANDLER: 0
; COMPUTE_PGM_RSRC2:TGID_X_EN: 1
; COMPUTE_PGM_RSRC2:TGID_Y_EN: 0
; COMPUTE_PGM_RSRC2:TGID_Z_EN: 0
; COMPUTE_PGM_RSRC2:TIDIG_COMP_CNT: 1
; COMPUTE_PGM_RSRC3_GFX90A:ACCUM_OFFSET: 4
; COMPUTE_PGM_RSRC3_GFX90A:TG_SPLIT: 0
	.section	.text._ZL18solve_tri_f32_fastILi64ELi6EEvPKfS1_Pf15HIP_vector_typeIjLj3EEmmmmmmii,"axG",@progbits,_ZL18solve_tri_f32_fastILi64ELi6EEvPKfS1_Pf15HIP_vector_typeIjLj3EEmmmmmmii,comdat
	.globl	_ZL18solve_tri_f32_fastILi64ELi6EEvPKfS1_Pf15HIP_vector_typeIjLj3EEmmmmmmii ; -- Begin function _ZL18solve_tri_f32_fastILi64ELi6EEvPKfS1_Pf15HIP_vector_typeIjLj3EEmmmmmmii
	.p2align	8
	.type	_ZL18solve_tri_f32_fastILi64ELi6EEvPKfS1_Pf15HIP_vector_typeIjLj3EEmmmmmmii,@function
_ZL18solve_tri_f32_fastILi64ELi6EEvPKfS1_Pf15HIP_vector_typeIjLj3EEmmmmmmii: ; @_ZL18solve_tri_f32_fastILi64ELi6EEvPKfS1_Pf15HIP_vector_typeIjLj3EEmmmmmmii
; %bb.0:
	v_bfe_u32 v1, v0, 10, 10
	v_cmp_gt_u32_e32 vcc, 6, v1
	s_and_saveexec_b64 s[0:1], vcc
	s_cbranch_execz .LBB7_301
; %bb.1:
	s_load_dwordx4 s[0:3], s[4:5], 0x18
	s_load_dwordx2 s[16:17], s[4:5], 0x0
	s_load_dwordx8 s[8:15], s[4:5], 0x28
	v_and_b32_e32 v11, 0x3ff, v0
	s_waitcnt lgkmcnt(0)
	s_mul_hi_u32 s0, s0, s6
	s_add_i32 s0, s6, s0
	s_lshr_b32 s33, s0, s1
	s_mul_i32 s0, s33, s2
	s_sub_i32 s44, s6, s0
	s_mul_i32 s0, s44, s9
	s_mul_hi_u32 s1, s44, s8
	s_add_i32 s1, s1, s0
	s_mul_i32 s0, s44, s8
	s_lshl_b64 s[0:1], s[0:1], 2
	s_add_u32 s2, s16, s0
	s_load_dword s6, s[4:5], 0x6c
	s_addc_u32 s3, s17, s1
	s_mul_i32 s0, s33, s11
	s_mul_hi_u32 s1, s33, s10
	s_add_i32 s1, s1, s0
	s_mul_i32 s0, s33, s10
	s_lshl_b64 s[0:1], s[0:1], 2
	s_add_u32 s0, s2, s0
	s_addc_u32 s1, s3, s1
	s_waitcnt lgkmcnt(0)
	s_and_b32 s2, s6, 0xffff
	v_mad_u32_u24 v2, v1, s2, v11
	s_movk_i32 s2, 0x1000
	v_cmp_gt_u32_e32 vcc, s2, v2
	v_lshlrev_b32_e32 v0, 2, v2
	s_and_saveexec_b64 s[2:3], vcc
	s_cbranch_execz .LBB7_3
; %bb.2:
	global_load_dword v3, v0, s[0:1]
	s_waitcnt vmcnt(0)
	ds_write_b32 v0, v3
.LBB7_3:
	s_or_b64 exec, exec, s[2:3]
	s_movk_i32 s2, 0xf40
	v_cmp_gt_u32_e32 vcc, s2, v2
	s_and_saveexec_b64 s[2:3], vcc
	s_cbranch_execz .LBB7_5
; %bb.4:
	global_load_dword v3, v0, s[0:1] offset:768
	s_waitcnt vmcnt(0)
	ds_write_b32 v0, v3 offset:768
.LBB7_5:
	s_or_b64 exec, exec, s[2:3]
	s_movk_i32 s2, 0xe80
	v_cmp_gt_u32_e32 vcc, s2, v2
	s_and_saveexec_b64 s[2:3], vcc
	s_cbranch_execz .LBB7_7
; %bb.6:
	global_load_dword v3, v0, s[0:1] offset:1536
	s_waitcnt vmcnt(0)
	ds_write_b32 v0, v3 offset:1536
.LBB7_7:
	;; [unrolled: 10-line block ×5, first 2 shown]
	s_or_b64 exec, exec, s[2:3]
	s_movk_i32 s2, 0xb80
	v_cmp_gt_u32_e32 vcc, s2, v2
	s_and_saveexec_b64 s[2:3], vcc
	s_cbranch_execz .LBB7_15
; %bb.14:
	v_add_u32_e32 v3, 0x1200, v0
	global_load_dword v3, v3, s[0:1]
	s_waitcnt vmcnt(0)
	ds_write_b32 v0, v3 offset:4608
.LBB7_15:
	s_or_b64 exec, exec, s[2:3]
	s_movk_i32 s2, 0xac0
	v_cmp_gt_u32_e32 vcc, s2, v2
	s_and_saveexec_b64 s[2:3], vcc
	s_cbranch_execz .LBB7_17
; %bb.16:
	v_add_u32_e32 v3, 0x1500, v0
	global_load_dword v3, v3, s[0:1]
	s_waitcnt vmcnt(0)
	ds_write_b32 v0, v3 offset:5376
.LBB7_17:
	;; [unrolled: 11-line block ×10, first 2 shown]
	s_or_b64 exec, exec, s[2:3]
	s_movk_i32 s2, 0x400
	v_cmp_gt_u32_e32 vcc, s2, v2
	s_and_saveexec_b64 s[2:3], vcc
	s_cbranch_execz .LBB7_35
; %bb.34:
	v_or_b32_e32 v3, 0x3000, v0
	global_load_dword v3, v3, s[0:1]
	s_waitcnt vmcnt(0)
	ds_write_b32 v0, v3 offset:12288
.LBB7_35:
	s_or_b64 exec, exec, s[2:3]
	s_movk_i32 s2, 0x340
	v_cmp_gt_u32_e32 vcc, s2, v2
	s_and_saveexec_b64 s[2:3], vcc
	s_cbranch_execz .LBB7_37
; %bb.36:
	v_add_u32_e32 v3, 0x3300, v0
	global_load_dword v3, v3, s[0:1]
	s_waitcnt vmcnt(0)
	ds_write_b32 v0, v3 offset:13056
.LBB7_37:
	s_or_b64 exec, exec, s[2:3]
	s_movk_i32 s2, 0x280
	v_cmp_gt_u32_e32 vcc, s2, v2
	s_and_saveexec_b64 s[2:3], vcc
	s_cbranch_execz .LBB7_39
; %bb.38:
	v_add_u32_e32 v3, 0x3600, v0
	global_load_dword v3, v3, s[0:1]
	s_waitcnt vmcnt(0)
	ds_write_b32 v0, v3 offset:13824
.LBB7_39:
	s_or_b64 exec, exec, s[2:3]
	s_load_dwordx4 s[8:11], s[4:5], 0x48
                                        ; implicit-def: $vgpr18 : SGPR spill to VGPR lane
	s_movk_i32 s2, 0x1c0
	v_cmp_gt_u32_e32 vcc, s2, v2
	s_waitcnt lgkmcnt(0)
	v_writelane_b32 v18, s8, 0
	v_writelane_b32 v18, s9, 1
	;; [unrolled: 1-line block ×4, first 2 shown]
	s_and_saveexec_b64 s[2:3], vcc
	s_cbranch_execz .LBB7_41
; %bb.40:
	v_add_u32_e32 v3, 0x3900, v0
	global_load_dword v3, v3, s[0:1]
	s_waitcnt vmcnt(0)
	ds_write_b32 v0, v3 offset:14592
.LBB7_41:
	s_or_b64 exec, exec, s[2:3]
	s_load_dwordx2 s[2:3], s[4:5], 0x8
	s_movk_i32 s6, 0x100
	v_cmp_gt_u32_e32 vcc, s6, v2
	s_and_saveexec_b64 s[6:7], vcc
	s_cbranch_execz .LBB7_43
; %bb.42:
	v_or_b32_e32 v3, 0x3c00, v0
	global_load_dword v3, v3, s[0:1]
	s_waitcnt vmcnt(0)
	ds_write_b32 v0, v3 offset:15360
.LBB7_43:
	s_or_b64 exec, exec, s[6:7]
	v_cmp_gt_u32_e32 vcc, 64, v2
	s_and_saveexec_b64 s[6:7], vcc
	s_cbranch_execz .LBB7_45
; %bb.44:
	v_or_b32_e32 v2, 0x3f00, v0
	global_load_dword v2, v2, s[0:1]
	s_waitcnt vmcnt(0)
	ds_write_b32 v0, v2 offset:16128
.LBB7_45:
	s_or_b64 exec, exec, s[6:7]
	s_mul_i32 s0, s44, s13
	s_mul_hi_u32 s1, s44, s12
	s_add_i32 s1, s1, s0
	s_mul_i32 s0, s44, s12
	s_mul_i32 s6, s33, s15
	s_mul_hi_u32 s7, s33, s14
	s_add_i32 s7, s7, s6
	s_lshl_b64 s[0:1], s[0:1], 2
	s_mul_i32 s6, s33, s14
	s_waitcnt lgkmcnt(0)
	s_add_u32 s2, s2, s0
	s_addc_u32 s3, s3, s1
	s_lshl_b64 s[0:1], s[6:7], 2
	s_add_u32 s0, s2, s0
	s_addc_u32 s1, s3, s1
	v_mov_b32_e32 v9, 0
	v_mul_u32_u24_e32 v0, 6, v11
	v_mov_b32_e32 v10, 0
	s_barrier
	v_cmp_gt_u32_e64 s[6:7], 64, v11
	s_mov_b64 s[2:3], exec
	v_writelane_b32 v18, s6, 4
	v_writelane_b32 v18, s7, 5
	s_and_b64 s[6:7], s[2:3], s[6:7]
	s_mov_b64 exec, s[6:7]
	s_cbranch_execz .LBB7_47
; %bb.46:
	v_add_lshl_u32 v2, v0, v1, 2
	global_load_dword v10, v2, s[0:1]
.LBB7_47:
	s_or_b64 exec, exec, s[2:3]
	v_add_u32_e32 v2, 32, v11
	v_mul_u32_u24_e32 v2, 6, v2
	v_cmp_gt_u32_e64 s[6:7], 32, v11
	s_mov_b64 s[2:3], exec
	v_writelane_b32 v18, s6, 6
	v_writelane_b32 v18, s7, 7
	s_and_b64 s[6:7], s[2:3], s[6:7]
	s_mov_b64 exec, s[6:7]
	s_cbranch_execz .LBB7_49
; %bb.48:
	v_add_lshl_u32 v3, v2, v1, 2
	global_load_dword v9, v3, s[0:1]
.LBB7_49:
	s_or_b64 exec, exec, s[2:3]
	v_mbcnt_lo_u32_b32 v3, -1, 0
	v_mbcnt_hi_u32_b32 v7, -1, v3
	v_and_b32_e32 v3, 0x60, v7
	v_add_u32_e32 v12, 32, v3
	v_xor_b32_e32 v3, 16, v7
	v_cmp_lt_i32_e32 vcc, v3, v12
	v_cndmask_b32_e32 v3, v7, v3, vcc
	v_mov_b32_e32 v8, 0
	v_lshlrev_b32_e32 v3, 2, v3
	ds_bpermute_b32 v5, v3, v8
	v_xor_b32_e32 v4, 8, v7
	v_cmp_lt_i32_e32 vcc, v4, v12
	v_cndmask_b32_e32 v4, v7, v4, vcc
	v_lshlrev_b32_e32 v4, 2, v4
	s_waitcnt lgkmcnt(0)
	v_add_f32_e32 v6, 0, v5
	ds_bpermute_b32 v13, v4, v6
	v_xor_b32_e32 v5, 4, v7
	v_cmp_lt_i32_e32 vcc, v5, v12
	v_cndmask_b32_e32 v5, v7, v5, vcc
	v_lshlrev_b32_e32 v5, 2, v5
	s_waitcnt lgkmcnt(0)
	v_add_f32_e32 v13, v6, v13
	;; [unrolled: 7-line block ×4, first 2 shown]
	ds_bpermute_b32 v13, v7, v12
	v_cmp_eq_u32_e64 s[6:7], 0, v11
	s_and_saveexec_b64 s[0:1], s[6:7]
	s_cbranch_execz .LBB7_51
; %bb.50:
	ds_read_b32 v14, v8
	s_waitcnt lgkmcnt(1)
	v_add_f32_e32 v12, v12, v13
	s_waitcnt vmcnt(0)
	v_sub_f32_e32 v10, v10, v12
	s_waitcnt lgkmcnt(0)
	v_div_scale_f32 v12, s[2:3], v14, v14, v10
	v_rcp_f32_e32 v13, v12
	v_div_scale_f32 v15, vcc, v10, v14, v10
	v_fma_f32 v16, -v12, v13, 1.0
	v_fmac_f32_e32 v13, v16, v13
	v_mul_f32_e32 v16, v15, v13
	v_fma_f32 v17, -v12, v16, v15
	v_fmac_f32_e32 v16, v17, v13
	v_fma_f32 v12, -v12, v16, v15
	v_div_fmas_f32 v12, v12, v13, v16
	v_div_fixup_f32 v10, v12, v14, v10
.LBB7_51:
	s_or_b64 exec, exec, s[0:1]
	ds_read_b32 v8, v8 offset:256
	v_cmp_eq_u32_e64 s[2:3], 1, v11
	s_waitcnt vmcnt(0) lgkmcnt(0)
	v_fma_f32 v8, v10, v8, 0
	v_cndmask_b32_e64 v8, 0, v8, s[6:7]
	ds_bpermute_b32 v12, v3, v8
	s_waitcnt lgkmcnt(0)
	v_add_f32_e32 v8, v8, v12
	ds_bpermute_b32 v12, v4, v8
	s_waitcnt lgkmcnt(0)
	v_add_f32_e32 v8, v8, v12
	;; [unrolled: 3-line block ×4, first 2 shown]
	ds_bpermute_b32 v12, v7, v8
	s_mov_b64 s[0:1], exec
	v_writelane_b32 v18, s2, 8
	v_writelane_b32 v18, s3, 9
	s_and_b64 s[2:3], s[0:1], s[2:3]
	s_mov_b64 exec, s[2:3]
	s_cbranch_execz .LBB7_53
; %bb.52:
	v_mov_b32_e32 v13, 0
	ds_read_b32 v13, v13 offset:260
	s_waitcnt lgkmcnt(1)
	v_add_f32_e32 v8, v8, v12
	v_sub_f32_e32 v8, v10, v8
	s_waitcnt lgkmcnt(0)
	v_div_scale_f32 v10, s[2:3], v13, v13, v8
	v_rcp_f32_e32 v12, v10
	v_div_scale_f32 v14, vcc, v8, v13, v8
	v_fma_f32 v15, -v10, v12, 1.0
	v_fmac_f32_e32 v12, v15, v12
	v_mul_f32_e32 v15, v14, v12
	v_fma_f32 v16, -v10, v15, v14
	v_fmac_f32_e32 v15, v16, v12
	v_fma_f32 v10, -v10, v15, v14
	v_div_fmas_f32 v10, v10, v12, v15
	v_div_fixup_f32 v10, v10, v13, v8
.LBB7_53:
	s_or_b64 exec, exec, s[0:1]
	s_waitcnt lgkmcnt(0)
	v_mov_b32_e32 v12, 0
	v_lshlrev_b32_e32 v8, 2, v11
	v_cmp_gt_u32_e64 s[2:3], 2, v11
	s_mov_b64 s[0:1], exec
	v_writelane_b32 v18, s2, 10
	v_writelane_b32 v18, s3, 11
	s_and_b64 s[2:3], s[0:1], s[2:3]
	s_mov_b64 exec, s[2:3]
	s_cbranch_execz .LBB7_55
; %bb.54:
	ds_read_b32 v12, v8 offset:512
	s_waitcnt lgkmcnt(0)
	v_fma_f32 v12, v10, v12, 0
.LBB7_55:
	s_or_b64 exec, exec, s[0:1]
	ds_bpermute_b32 v13, v3, v12
	v_cmp_eq_u32_e64 s[74:75], 2, v11
	s_waitcnt lgkmcnt(0)
	v_add_f32_e32 v12, v12, v13
	ds_bpermute_b32 v13, v4, v12
	s_waitcnt lgkmcnt(0)
	v_add_f32_e32 v12, v12, v13
	ds_bpermute_b32 v13, v5, v12
	s_waitcnt lgkmcnt(0)
	v_add_f32_e32 v12, v12, v13
	ds_bpermute_b32 v13, v6, v12
	s_waitcnt lgkmcnt(0)
	v_add_f32_e32 v12, v12, v13
	ds_bpermute_b32 v13, v7, v12
	s_and_saveexec_b64 s[0:1], s[74:75]
	s_cbranch_execz .LBB7_57
; %bb.56:
	v_mov_b32_e32 v14, 0
	ds_read_b32 v14, v14 offset:520
	s_waitcnt lgkmcnt(1)
	v_add_f32_e32 v12, v12, v13
	v_sub_f32_e32 v10, v10, v12
	s_waitcnt lgkmcnt(0)
	v_div_scale_f32 v12, s[2:3], v14, v14, v10
	v_rcp_f32_e32 v13, v12
	v_div_scale_f32 v15, vcc, v10, v14, v10
	v_fma_f32 v16, -v12, v13, 1.0
	v_fmac_f32_e32 v13, v16, v13
	v_mul_f32_e32 v16, v15, v13
	v_fma_f32 v17, -v12, v16, v15
	v_fmac_f32_e32 v16, v17, v13
	v_fma_f32 v12, -v12, v16, v15
	v_div_fmas_f32 v12, v12, v13, v16
	v_div_fixup_f32 v10, v12, v14, v10
.LBB7_57:
	s_or_b64 exec, exec, s[0:1]
	v_mov_b32_e32 v12, 0
	v_cmp_gt_u32_e64 s[2:3], 3, v11
	s_mov_b64 s[0:1], exec
	v_writelane_b32 v18, s2, 12
	v_writelane_b32 v18, s3, 13
	s_and_b64 s[2:3], s[0:1], s[2:3]
	s_mov_b64 exec, s[2:3]
	s_cbranch_execz .LBB7_59
; %bb.58:
	ds_read_b32 v12, v8 offset:768
	s_waitcnt lgkmcnt(0)
	v_fma_f32 v12, v10, v12, 0
.LBB7_59:
	s_or_b64 exec, exec, s[0:1]
	s_waitcnt lgkmcnt(0)
	ds_bpermute_b32 v13, v3, v12
	v_cmp_eq_u32_e64 s[76:77], 3, v11
	s_waitcnt lgkmcnt(0)
	v_add_f32_e32 v12, v12, v13
	ds_bpermute_b32 v13, v4, v12
	s_waitcnt lgkmcnt(0)
	v_add_f32_e32 v12, v12, v13
	ds_bpermute_b32 v13, v5, v12
	s_waitcnt lgkmcnt(0)
	v_add_f32_e32 v12, v12, v13
	ds_bpermute_b32 v13, v6, v12
	s_waitcnt lgkmcnt(0)
	v_add_f32_e32 v12, v12, v13
	ds_bpermute_b32 v13, v7, v12
	s_and_saveexec_b64 s[0:1], s[76:77]
	s_cbranch_execz .LBB7_61
; %bb.60:
	v_mov_b32_e32 v14, 0
	ds_read_b32 v14, v14 offset:780
	s_waitcnt lgkmcnt(1)
	v_add_f32_e32 v12, v12, v13
	v_sub_f32_e32 v10, v10, v12
	s_waitcnt lgkmcnt(0)
	v_div_scale_f32 v12, s[2:3], v14, v14, v10
	v_rcp_f32_e32 v13, v12
	v_div_scale_f32 v15, vcc, v10, v14, v10
	v_fma_f32 v16, -v12, v13, 1.0
	v_fmac_f32_e32 v13, v16, v13
	v_mul_f32_e32 v16, v15, v13
	v_fma_f32 v17, -v12, v16, v15
	v_fmac_f32_e32 v16, v17, v13
	v_fma_f32 v12, -v12, v16, v15
	v_div_fmas_f32 v12, v12, v13, v16
	v_div_fixup_f32 v10, v12, v14, v10
.LBB7_61:
	s_or_b64 exec, exec, s[0:1]
	v_mov_b32_e32 v12, 0
	v_cmp_gt_u32_e64 s[2:3], 4, v11
	s_mov_b64 s[0:1], exec
	v_writelane_b32 v18, s2, 14
	v_writelane_b32 v18, s3, 15
	s_and_b64 s[2:3], s[0:1], s[2:3]
	s_mov_b64 exec, s[2:3]
	s_cbranch_execz .LBB7_63
; %bb.62:
	ds_read_b32 v12, v8 offset:1024
	s_waitcnt lgkmcnt(0)
	v_fma_f32 v12, v10, v12, 0
.LBB7_63:
	s_or_b64 exec, exec, s[0:1]
	s_waitcnt lgkmcnt(0)
	;; [unrolled: 51-line block ×14, first 2 shown]
	ds_bpermute_b32 v13, v3, v12
	v_cmp_eq_u32_e64 s[10:11], 16, v11
	s_waitcnt lgkmcnt(0)
	v_add_f32_e32 v12, v12, v13
	ds_bpermute_b32 v13, v4, v12
	s_waitcnt lgkmcnt(0)
	v_add_f32_e32 v12, v12, v13
	ds_bpermute_b32 v13, v5, v12
	s_waitcnt lgkmcnt(0)
	v_add_f32_e32 v12, v12, v13
	ds_bpermute_b32 v13, v6, v12
	s_waitcnt lgkmcnt(0)
	v_add_f32_e32 v12, v12, v13
	ds_bpermute_b32 v13, v7, v12
	s_and_saveexec_b64 s[12:13], s[10:11]
	s_cbranch_execz .LBB7_113
; %bb.112:
	v_mov_b32_e32 v14, 0
	ds_read_b32 v14, v14 offset:4160
	s_waitcnt lgkmcnt(1)
	v_add_f32_e32 v12, v12, v13
	v_sub_f32_e32 v10, v10, v12
	s_waitcnt lgkmcnt(0)
	v_div_scale_f32 v12, s[14:15], v14, v14, v10
	v_rcp_f32_e32 v13, v12
	v_div_scale_f32 v15, vcc, v10, v14, v10
	v_fma_f32 v16, -v12, v13, 1.0
	v_fmac_f32_e32 v13, v16, v13
	v_mul_f32_e32 v16, v15, v13
	v_fma_f32 v17, -v12, v16, v15
	v_fmac_f32_e32 v16, v17, v13
	v_fma_f32 v12, -v12, v16, v15
	v_div_fmas_f32 v12, v12, v13, v16
	v_div_fixup_f32 v10, v12, v14, v10
.LBB7_113:
	s_or_b64 exec, exec, s[12:13]
	v_cmp_gt_u32_e64 s[46:47], 17, v11
	v_mov_b32_e32 v12, 0
	s_and_saveexec_b64 s[12:13], s[46:47]
	s_cbranch_execz .LBB7_115
; %bb.114:
	ds_read_b32 v12, v8 offset:4352
	s_waitcnt lgkmcnt(0)
	v_fma_f32 v12, v10, v12, 0
.LBB7_115:
	s_or_b64 exec, exec, s[12:13]
	s_waitcnt lgkmcnt(0)
	ds_bpermute_b32 v13, v3, v12
	v_cmp_eq_u32_e64 s[12:13], 17, v11
	s_waitcnt lgkmcnt(0)
	v_add_f32_e32 v12, v12, v13
	ds_bpermute_b32 v13, v4, v12
	s_waitcnt lgkmcnt(0)
	v_add_f32_e32 v12, v12, v13
	ds_bpermute_b32 v13, v5, v12
	s_waitcnt lgkmcnt(0)
	v_add_f32_e32 v12, v12, v13
	ds_bpermute_b32 v13, v6, v12
	s_waitcnt lgkmcnt(0)
	v_add_f32_e32 v12, v12, v13
	ds_bpermute_b32 v13, v7, v12
	s_and_saveexec_b64 s[14:15], s[12:13]
	s_cbranch_execz .LBB7_117
; %bb.116:
	v_mov_b32_e32 v14, 0
	ds_read_b32 v14, v14 offset:4420
	s_waitcnt lgkmcnt(1)
	v_add_f32_e32 v12, v12, v13
	v_sub_f32_e32 v10, v10, v12
	s_waitcnt lgkmcnt(0)
	v_div_scale_f32 v12, s[16:17], v14, v14, v10
	v_rcp_f32_e32 v13, v12
	v_div_scale_f32 v15, vcc, v10, v14, v10
	v_fma_f32 v16, -v12, v13, 1.0
	v_fmac_f32_e32 v13, v16, v13
	v_mul_f32_e32 v16, v15, v13
	v_fma_f32 v17, -v12, v16, v15
	v_fmac_f32_e32 v16, v17, v13
	v_fma_f32 v12, -v12, v16, v15
	v_div_fmas_f32 v12, v12, v13, v16
	v_div_fixup_f32 v10, v12, v14, v10
.LBB7_117:
	s_or_b64 exec, exec, s[14:15]
	v_cmp_gt_u32_e64 s[48:49], 18, v11
	v_mov_b32_e32 v12, 0
	s_and_saveexec_b64 s[14:15], s[48:49]
	s_cbranch_execz .LBB7_119
; %bb.118:
	ds_read_b32 v12, v8 offset:4608
	s_waitcnt lgkmcnt(0)
	v_fma_f32 v12, v10, v12, 0
.LBB7_119:
	s_or_b64 exec, exec, s[14:15]
	s_waitcnt lgkmcnt(0)
	;; [unrolled: 47-line block ×14, first 2 shown]
	ds_bpermute_b32 v13, v3, v12
	v_cmp_eq_u32_e64 s[40:41], 30, v11
	s_waitcnt lgkmcnt(0)
	v_add_f32_e32 v12, v12, v13
	ds_bpermute_b32 v13, v4, v12
	s_waitcnt lgkmcnt(0)
	v_add_f32_e32 v12, v12, v13
	ds_bpermute_b32 v13, v5, v12
	;; [unrolled: 3-line block ×4, first 2 shown]
	s_and_saveexec_b64 s[42:43], s[40:41]
	s_cbranch_execz .LBB7_169
; %bb.168:
	v_mov_b32_e32 v14, 0
	ds_read_b32 v14, v14 offset:7800
	s_waitcnt lgkmcnt(1)
	v_add_f32_e32 v12, v12, v13
	v_sub_f32_e32 v10, v10, v12
	s_waitcnt lgkmcnt(0)
	v_div_scale_f32 v12, vcc, v14, v14, v10
	v_rcp_f32_e32 v13, v12
	v_div_scale_f32 v15, vcc, v10, v14, v10
	v_fma_f32 v16, -v12, v13, 1.0
	v_fmac_f32_e32 v13, v16, v13
	v_mul_f32_e32 v16, v15, v13
	v_fma_f32 v17, -v12, v16, v15
	v_fmac_f32_e32 v16, v17, v13
	v_fma_f32 v12, -v12, v16, v15
	v_div_fmas_f32 v12, v12, v13, v16
	v_div_fixup_f32 v10, v12, v14, v10
.LBB7_169:
	s_or_b64 exec, exec, s[42:43]
	v_mov_b32_e32 v12, 0
	v_cmp_gt_u32_e32 vcc, 31, v11
	s_mov_b64 s[42:43], exec
	v_writelane_b32 v18, vcc_lo, 40
	v_writelane_b32 v18, vcc_hi, 41
	s_and_b64 vcc, s[42:43], vcc
	s_mov_b64 exec, vcc
	s_cbranch_execz .LBB7_171
; %bb.170:
	ds_read_b32 v12, v8 offset:7936
	s_waitcnt lgkmcnt(0)
	v_fma_f32 v12, v10, v12, 0
.LBB7_171:
	s_or_b64 exec, exec, s[42:43]
	s_waitcnt lgkmcnt(0)
	ds_bpermute_b32 v13, v3, v12
	v_cmp_eq_u32_e32 vcc, 31, v11
	s_waitcnt lgkmcnt(0)
	v_add_f32_e32 v12, v12, v13
	ds_bpermute_b32 v13, v4, v12
	s_waitcnt lgkmcnt(0)
	v_add_f32_e32 v12, v12, v13
	ds_bpermute_b32 v13, v5, v12
	;; [unrolled: 3-line block ×4, first 2 shown]
	s_mov_b64 s[42:43], exec
	v_writelane_b32 v18, vcc_lo, 42
	v_writelane_b32 v18, vcc_hi, 43
	s_and_b64 vcc, s[42:43], vcc
	s_mov_b64 exec, vcc
	s_cbranch_execz .LBB7_173
; %bb.172:
	v_mov_b32_e32 v11, 0
	ds_read_b32 v11, v11 offset:8060
	s_waitcnt lgkmcnt(1)
	v_add_f32_e32 v12, v12, v13
	v_sub_f32_e32 v10, v10, v12
	s_waitcnt lgkmcnt(0)
	v_div_scale_f32 v12, vcc, v11, v11, v10
	v_rcp_f32_e32 v13, v12
	v_div_scale_f32 v14, vcc, v10, v11, v10
	v_fma_f32 v15, -v12, v13, 1.0
	v_fmac_f32_e32 v13, v15, v13
	v_mul_f32_e32 v15, v14, v13
	v_fma_f32 v16, -v12, v15, v14
	v_fmac_f32_e32 v15, v16, v13
	v_fma_f32 v12, -v12, v15, v14
	v_div_fmas_f32 v12, v12, v13, v15
	v_div_fixup_f32 v10, v12, v11, v10
.LBB7_173:
	s_or_b64 exec, exec, s[42:43]
	ds_read_b32 v11, v8 offset:8192
	s_waitcnt lgkmcnt(0)
	v_mul_f32_e32 v12, v10, v11
	ds_bpermute_b32 v12, v3, v12
	s_waitcnt lgkmcnt(0)
	v_fmac_f32_e32 v12, v10, v11
	ds_bpermute_b32 v11, v4, v12
	s_waitcnt lgkmcnt(0)
	v_add_f32_e32 v11, v12, v11
	ds_bpermute_b32 v12, v5, v11
	s_waitcnt lgkmcnt(0)
	v_add_f32_e32 v11, v11, v12
	;; [unrolled: 3-line block ×3, first 2 shown]
	ds_bpermute_b32 v12, v7, v11
	s_and_saveexec_b64 s[42:43], s[6:7]
	s_cbranch_execz .LBB7_175
; %bb.174:
	v_mov_b32_e32 v13, 0
	ds_read_b32 v13, v13 offset:8320
	s_waitcnt lgkmcnt(1)
	v_add_f32_e32 v11, v11, v12
	v_sub_f32_e32 v9, v9, v11
	s_waitcnt lgkmcnt(0)
	v_div_scale_f32 v11, vcc, v13, v13, v9
	v_rcp_f32_e32 v12, v11
	v_div_scale_f32 v14, vcc, v9, v13, v9
	v_fma_f32 v15, -v11, v12, 1.0
	v_fmac_f32_e32 v12, v15, v12
	v_mul_f32_e32 v15, v14, v12
	v_fma_f32 v16, -v11, v15, v14
	v_fmac_f32_e32 v15, v16, v12
	v_fma_f32 v11, -v11, v15, v14
	v_div_fmas_f32 v11, v11, v12, v15
	v_div_fixup_f32 v9, v11, v13, v9
.LBB7_175:
	s_or_b64 exec, exec, s[42:43]
	v_mov_b32_e32 v11, 0
	s_waitcnt lgkmcnt(0)
	ds_read_b32 v12, v8 offset:8448
	ds_read_b32 v13, v11 offset:8576
	s_waitcnt lgkmcnt(1)
	v_mul_f32_e32 v12, v10, v12
	s_waitcnt lgkmcnt(0)
	v_fma_f32 v13, v9, v13, v12
	v_cndmask_b32_e64 v12, v12, v13, s[6:7]
	ds_bpermute_b32 v13, v3, v12
	s_waitcnt lgkmcnt(0)
	v_add_f32_e32 v12, v12, v13
	ds_bpermute_b32 v13, v4, v12
	s_waitcnt lgkmcnt(0)
	v_add_f32_e32 v12, v12, v13
	;; [unrolled: 3-line block ×4, first 2 shown]
	ds_bpermute_b32 v13, v7, v12
	s_mov_b64 s[6:7], exec
	v_readlane_b32 s42, v18, 8
	v_readlane_b32 s43, v18, 9
	s_and_b64 s[42:43], s[6:7], s[42:43]
	s_mov_b64 exec, s[42:43]
	s_cbranch_execz .LBB7_177
; %bb.176:
	ds_read_b32 v11, v11 offset:8580
	s_waitcnt lgkmcnt(1)
	v_add_f32_e32 v12, v12, v13
	v_sub_f32_e32 v9, v9, v12
	s_waitcnt lgkmcnt(0)
	v_div_scale_f32 v12, s[42:43], v11, v11, v9
	v_rcp_f32_e32 v13, v12
	v_div_scale_f32 v14, vcc, v9, v11, v9
	v_fma_f32 v15, -v12, v13, 1.0
	v_fmac_f32_e32 v13, v15, v13
	v_mul_f32_e32 v15, v14, v13
	v_fma_f32 v16, -v12, v15, v14
	v_fmac_f32_e32 v15, v16, v13
	v_fma_f32 v12, -v12, v15, v14
	v_div_fmas_f32 v12, v12, v13, v15
	v_div_fixup_f32 v9, v12, v11, v9
.LBB7_177:
	s_or_b64 exec, exec, s[6:7]
	ds_read_b32 v11, v8 offset:8704
	s_waitcnt lgkmcnt(0)
	v_mul_f32_e32 v11, v10, v11
	s_mov_b64 s[6:7], exec
	v_readlane_b32 s42, v18, 10
	v_readlane_b32 s43, v18, 11
	s_and_b64 s[42:43], s[6:7], s[42:43]
	s_mov_b64 exec, s[42:43]
	s_cbranch_execz .LBB7_179
; %bb.178:
	ds_read_b32 v12, v8 offset:8832
	s_waitcnt lgkmcnt(0)
	v_fmac_f32_e32 v11, v9, v12
.LBB7_179:
	s_or_b64 exec, exec, s[6:7]
	ds_bpermute_b32 v12, v3, v11
	s_waitcnt lgkmcnt(0)
	v_add_f32_e32 v11, v11, v12
	ds_bpermute_b32 v12, v4, v11
	s_waitcnt lgkmcnt(0)
	v_add_f32_e32 v11, v11, v12
	ds_bpermute_b32 v12, v5, v11
	s_waitcnt lgkmcnt(0)
	v_add_f32_e32 v11, v11, v12
	ds_bpermute_b32 v12, v6, v11
	s_waitcnt lgkmcnt(0)
	v_add_f32_e32 v11, v11, v12
	ds_bpermute_b32 v12, v7, v11
	s_and_saveexec_b64 s[6:7], s[74:75]
	s_cbranch_execz .LBB7_181
; %bb.180:
	v_mov_b32_e32 v13, 0
	ds_read_b32 v13, v13 offset:8840
	s_waitcnt lgkmcnt(1)
	v_add_f32_e32 v11, v11, v12
	v_sub_f32_e32 v9, v9, v11
	s_waitcnt lgkmcnt(0)
	v_div_scale_f32 v11, s[42:43], v13, v13, v9
	v_rcp_f32_e32 v12, v11
	v_div_scale_f32 v14, vcc, v9, v13, v9
	v_fma_f32 v15, -v11, v12, 1.0
	v_fmac_f32_e32 v12, v15, v12
	v_mul_f32_e32 v15, v14, v12
	v_fma_f32 v16, -v11, v15, v14
	v_fmac_f32_e32 v15, v16, v12
	v_fma_f32 v11, -v11, v15, v14
	v_div_fmas_f32 v11, v11, v12, v15
	v_div_fixup_f32 v9, v11, v13, v9
.LBB7_181:
	s_or_b64 exec, exec, s[6:7]
	ds_read_b32 v11, v8 offset:8960
	s_waitcnt lgkmcnt(0)
	v_mul_f32_e32 v11, v10, v11
	s_mov_b64 s[6:7], exec
	v_readlane_b32 s42, v18, 12
	v_readlane_b32 s43, v18, 13
	s_and_b64 s[42:43], s[6:7], s[42:43]
	s_mov_b64 exec, s[42:43]
	s_cbranch_execz .LBB7_183
; %bb.182:
	ds_read_b32 v12, v8 offset:9088
	s_waitcnt lgkmcnt(0)
	v_fmac_f32_e32 v11, v9, v12
.LBB7_183:
	s_or_b64 exec, exec, s[6:7]
	ds_bpermute_b32 v12, v3, v11
	s_waitcnt lgkmcnt(0)
	v_add_f32_e32 v11, v11, v12
	ds_bpermute_b32 v12, v4, v11
	s_waitcnt lgkmcnt(0)
	v_add_f32_e32 v11, v11, v12
	ds_bpermute_b32 v12, v5, v11
	s_waitcnt lgkmcnt(0)
	v_add_f32_e32 v11, v11, v12
	ds_bpermute_b32 v12, v6, v11
	s_waitcnt lgkmcnt(0)
	v_add_f32_e32 v11, v11, v12
	ds_bpermute_b32 v12, v7, v11
	s_and_saveexec_b64 s[6:7], s[76:77]
	s_cbranch_execz .LBB7_185
; %bb.184:
	v_mov_b32_e32 v13, 0
	ds_read_b32 v13, v13 offset:9100
	s_waitcnt lgkmcnt(1)
	v_add_f32_e32 v11, v11, v12
	v_sub_f32_e32 v9, v9, v11
	s_waitcnt lgkmcnt(0)
	v_div_scale_f32 v11, s[42:43], v13, v13, v9
	v_rcp_f32_e32 v12, v11
	v_div_scale_f32 v14, vcc, v9, v13, v9
	v_fma_f32 v15, -v11, v12, 1.0
	v_fmac_f32_e32 v12, v15, v12
	v_mul_f32_e32 v15, v14, v12
	v_fma_f32 v16, -v11, v15, v14
	v_fmac_f32_e32 v15, v16, v12
	v_fma_f32 v11, -v11, v15, v14
	v_div_fmas_f32 v11, v11, v12, v15
	v_div_fixup_f32 v9, v11, v13, v9
.LBB7_185:
	;; [unrolled: 50-line block ×15, first 2 shown]
	s_or_b64 exec, exec, s[0:1]
	ds_read_b32 v11, v8 offset:12544
	s_waitcnt lgkmcnt(0)
	v_mul_f32_e32 v11, v10, v11
	s_and_saveexec_b64 s[0:1], s[46:47]
	s_cbranch_execz .LBB7_239
; %bb.238:
	ds_read_b32 v12, v8 offset:12672
	s_waitcnt lgkmcnt(0)
	v_fmac_f32_e32 v11, v9, v12
.LBB7_239:
	s_or_b64 exec, exec, s[0:1]
	ds_bpermute_b32 v12, v3, v11
	s_waitcnt lgkmcnt(0)
	v_add_f32_e32 v11, v11, v12
	ds_bpermute_b32 v12, v4, v11
	s_waitcnt lgkmcnt(0)
	v_add_f32_e32 v11, v11, v12
	ds_bpermute_b32 v12, v5, v11
	s_waitcnt lgkmcnt(0)
	v_add_f32_e32 v11, v11, v12
	ds_bpermute_b32 v12, v6, v11
	s_waitcnt lgkmcnt(0)
	v_add_f32_e32 v11, v11, v12
	ds_bpermute_b32 v12, v7, v11
	s_and_saveexec_b64 s[0:1], s[12:13]
	s_cbranch_execz .LBB7_241
; %bb.240:
	v_mov_b32_e32 v13, 0
	ds_read_b32 v13, v13 offset:12740
	s_waitcnt lgkmcnt(1)
	v_add_f32_e32 v11, v11, v12
	v_sub_f32_e32 v9, v9, v11
	s_waitcnt lgkmcnt(0)
	v_div_scale_f32 v11, s[2:3], v13, v13, v9
	v_rcp_f32_e32 v12, v11
	v_div_scale_f32 v14, vcc, v9, v13, v9
	v_fma_f32 v15, -v11, v12, 1.0
	v_fmac_f32_e32 v12, v15, v12
	v_mul_f32_e32 v15, v14, v12
	v_fma_f32 v16, -v11, v15, v14
	v_fmac_f32_e32 v15, v16, v12
	v_fma_f32 v11, -v11, v15, v14
	v_div_fmas_f32 v11, v11, v12, v15
	v_div_fixup_f32 v9, v11, v13, v9
.LBB7_241:
	s_or_b64 exec, exec, s[0:1]
	ds_read_b32 v11, v8 offset:12800
	s_waitcnt lgkmcnt(0)
	v_mul_f32_e32 v11, v10, v11
	s_and_saveexec_b64 s[0:1], s[48:49]
	s_cbranch_execz .LBB7_243
; %bb.242:
	ds_read_b32 v12, v8 offset:12928
	s_waitcnt lgkmcnt(0)
	v_fmac_f32_e32 v11, v9, v12
.LBB7_243:
	s_or_b64 exec, exec, s[0:1]
	ds_bpermute_b32 v12, v3, v11
	s_waitcnt lgkmcnt(0)
	v_add_f32_e32 v11, v11, v12
	ds_bpermute_b32 v12, v4, v11
	s_waitcnt lgkmcnt(0)
	v_add_f32_e32 v11, v11, v12
	ds_bpermute_b32 v12, v5, v11
	s_waitcnt lgkmcnt(0)
	v_add_f32_e32 v11, v11, v12
	ds_bpermute_b32 v12, v6, v11
	s_waitcnt lgkmcnt(0)
	v_add_f32_e32 v11, v11, v12
	ds_bpermute_b32 v12, v7, v11
	s_and_saveexec_b64 s[0:1], s[14:15]
	s_cbranch_execz .LBB7_245
; %bb.244:
	v_mov_b32_e32 v13, 0
	ds_read_b32 v13, v13 offset:13000
	s_waitcnt lgkmcnt(1)
	v_add_f32_e32 v11, v11, v12
	v_sub_f32_e32 v9, v9, v11
	s_waitcnt lgkmcnt(0)
	v_div_scale_f32 v11, s[2:3], v13, v13, v9
	v_rcp_f32_e32 v12, v11
	v_div_scale_f32 v14, vcc, v9, v13, v9
	v_fma_f32 v15, -v11, v12, 1.0
	v_fmac_f32_e32 v12, v15, v12
	v_mul_f32_e32 v15, v14, v12
	v_fma_f32 v16, -v11, v15, v14
	v_fmac_f32_e32 v15, v16, v12
	v_fma_f32 v11, -v11, v15, v14
	v_div_fmas_f32 v11, v11, v12, v15
	v_div_fixup_f32 v9, v11, v13, v9
.LBB7_245:
	;; [unrolled: 46-line block ×14, first 2 shown]
	s_or_b64 exec, exec, s[0:1]
	ds_read_b32 v11, v8 offset:16128
	s_load_dwordx2 s[0:1], s[4:5], 0x10
	s_waitcnt lgkmcnt(0)
	v_mul_f32_e32 v11, v10, v11
	s_mov_b64 s[2:3], exec
	v_readlane_b32 s4, v18, 40
	v_readlane_b32 s5, v18, 41
	s_and_b64 s[4:5], s[2:3], s[4:5]
	s_mov_b64 exec, s[4:5]
	s_cbranch_execz .LBB7_295
; %bb.294:
	ds_read_b32 v8, v8 offset:16256
	s_waitcnt lgkmcnt(0)
	v_fmac_f32_e32 v11, v9, v8
.LBB7_295:
	s_or_b64 exec, exec, s[2:3]
	ds_bpermute_b32 v3, v3, v11
	s_waitcnt lgkmcnt(0)
	v_add_f32_e32 v3, v11, v3
	ds_bpermute_b32 v4, v4, v3
	s_waitcnt lgkmcnt(0)
	v_add_f32_e32 v3, v3, v4
	;; [unrolled: 3-line block ×4, first 2 shown]
	ds_bpermute_b32 v4, v7, v3
	s_mov_b64 s[2:3], exec
	v_readlane_b32 s4, v18, 42
	v_readlane_b32 s5, v18, 43
	s_and_b64 s[4:5], s[2:3], s[4:5]
	s_mov_b64 exec, s[4:5]
	s_cbranch_execz .LBB7_297
; %bb.296:
	v_mov_b32_e32 v5, 0
	ds_read_b32 v5, v5 offset:16380
	s_waitcnt lgkmcnt(1)
	v_add_f32_e32 v3, v3, v4
	v_sub_f32_e32 v3, v9, v3
	s_waitcnt lgkmcnt(0)
	v_div_scale_f32 v4, s[4:5], v5, v5, v3
	v_rcp_f32_e32 v6, v4
	v_div_scale_f32 v7, vcc, v3, v5, v3
	v_fma_f32 v8, -v4, v6, 1.0
	v_fmac_f32_e32 v6, v8, v6
	v_mul_f32_e32 v8, v7, v6
	v_fma_f32 v9, -v4, v8, v7
	v_fmac_f32_e32 v8, v9, v6
	v_fma_f32 v4, -v4, v8, v7
	v_div_fmas_f32 v4, v4, v6, v8
	v_div_fixup_f32 v9, v4, v5, v3
.LBB7_297:
	s_or_b64 exec, exec, s[2:3]
	v_readlane_b32 s4, v18, 0
	v_readlane_b32 s5, v18, 1
	;; [unrolled: 1-line block ×4, first 2 shown]
	s_mul_i32 s2, s44, s5
	s_mul_hi_u32 s3, s44, s4
	s_add_i32 s3, s3, s2
	s_mul_i32 s2, s44, s4
	s_mul_i32 s4, s33, s7
	s_mul_hi_u32 s5, s33, s6
	s_add_i32 s5, s5, s4
	s_lshl_b64 s[2:3], s[2:3], 2
	s_mul_i32 s4, s33, s6
	s_add_u32 s2, s0, s2
	s_addc_u32 s3, s1, s3
	s_lshl_b64 s[0:1], s[4:5], 2
	s_add_u32 s0, s2, s0
	s_addc_u32 s1, s3, s1
	s_mov_b64 s[2:3], exec
	v_readlane_b32 s4, v18, 4
	v_readlane_b32 s5, v18, 5
	s_and_b64 s[4:5], s[2:3], s[4:5]
	s_mov_b64 exec, s[4:5]
	s_cbranch_execz .LBB7_299
; %bb.298:
	v_readlane_b32 s4, v18, 6
	v_readlane_b32 s5, v18, 7
	v_cndmask_b32_e64 v3, v9, v10, s[4:5]
	v_add_lshl_u32 v0, v0, v1, 2
	global_store_dword v0, v3, s[0:1]
.LBB7_299:
	s_or_b64 exec, exec, s[2:3]
	v_readlane_b32 s2, v18, 6
	v_readlane_b32 s3, v18, 7
	s_and_b64 exec, exec, s[2:3]
	s_cbranch_execz .LBB7_301
; %bb.300:
	v_add_lshl_u32 v0, v2, v1, 2
	global_store_dword v0, v9, s[0:1]
.LBB7_301:
	s_endpgm
	.section	.rodata,"a",@progbits
	.p2align	6, 0x0
	.amdhsa_kernel _ZL18solve_tri_f32_fastILi64ELi6EEvPKfS1_Pf15HIP_vector_typeIjLj3EEmmmmmmii
		.amdhsa_group_segment_fixed_size 16384
		.amdhsa_private_segment_fixed_size 0
		.amdhsa_kernarg_size 352
		.amdhsa_user_sgpr_count 6
		.amdhsa_user_sgpr_private_segment_buffer 1
		.amdhsa_user_sgpr_dispatch_ptr 0
		.amdhsa_user_sgpr_queue_ptr 0
		.amdhsa_user_sgpr_kernarg_segment_ptr 1
		.amdhsa_user_sgpr_dispatch_id 0
		.amdhsa_user_sgpr_flat_scratch_init 0
		.amdhsa_user_sgpr_kernarg_preload_length 0
		.amdhsa_user_sgpr_kernarg_preload_offset 0
		.amdhsa_user_sgpr_private_segment_size 0
		.amdhsa_uses_dynamic_stack 0
		.amdhsa_system_sgpr_private_segment_wavefront_offset 0
		.amdhsa_system_sgpr_workgroup_id_x 1
		.amdhsa_system_sgpr_workgroup_id_y 0
		.amdhsa_system_sgpr_workgroup_id_z 0
		.amdhsa_system_sgpr_workgroup_info 0
		.amdhsa_system_vgpr_workitem_id 1
		.amdhsa_next_free_vgpr 19
		.amdhsa_next_free_sgpr 96
		.amdhsa_accum_offset 20
		.amdhsa_reserve_vcc 1
		.amdhsa_reserve_flat_scratch 0
		.amdhsa_float_round_mode_32 0
		.amdhsa_float_round_mode_16_64 0
		.amdhsa_float_denorm_mode_32 3
		.amdhsa_float_denorm_mode_16_64 3
		.amdhsa_dx10_clamp 1
		.amdhsa_ieee_mode 1
		.amdhsa_fp16_overflow 0
		.amdhsa_tg_split 0
		.amdhsa_exception_fp_ieee_invalid_op 0
		.amdhsa_exception_fp_denorm_src 0
		.amdhsa_exception_fp_ieee_div_zero 0
		.amdhsa_exception_fp_ieee_overflow 0
		.amdhsa_exception_fp_ieee_underflow 0
		.amdhsa_exception_fp_ieee_inexact 0
		.amdhsa_exception_int_div_zero 0
	.end_amdhsa_kernel
	.section	.text._ZL18solve_tri_f32_fastILi64ELi6EEvPKfS1_Pf15HIP_vector_typeIjLj3EEmmmmmmii,"axG",@progbits,_ZL18solve_tri_f32_fastILi64ELi6EEvPKfS1_Pf15HIP_vector_typeIjLj3EEmmmmmmii,comdat
.Lfunc_end7:
	.size	_ZL18solve_tri_f32_fastILi64ELi6EEvPKfS1_Pf15HIP_vector_typeIjLj3EEmmmmmmii, .Lfunc_end7-_ZL18solve_tri_f32_fastILi64ELi6EEvPKfS1_Pf15HIP_vector_typeIjLj3EEmmmmmmii
                                        ; -- End function
	.section	.AMDGPU.csdata,"",@progbits
; Kernel info:
; codeLenInByte = 17496
; NumSgprs: 100
; NumVgprs: 19
; NumAgprs: 0
; TotalNumVgprs: 19
; ScratchSize: 0
; MemoryBound: 0
; FloatMode: 240
; IeeeMode: 1
; LDSByteSize: 16384 bytes/workgroup (compile time only)
; SGPRBlocks: 12
; VGPRBlocks: 2
; NumSGPRsForWavesPerEU: 100
; NumVGPRsForWavesPerEU: 19
; AccumOffset: 20
; Occupancy: 8
; WaveLimiterHint : 0
; COMPUTE_PGM_RSRC2:SCRATCH_EN: 0
; COMPUTE_PGM_RSRC2:USER_SGPR: 6
; COMPUTE_PGM_RSRC2:TRAP_HANDLER: 0
; COMPUTE_PGM_RSRC2:TGID_X_EN: 1
; COMPUTE_PGM_RSRC2:TGID_Y_EN: 0
; COMPUTE_PGM_RSRC2:TGID_Z_EN: 0
; COMPUTE_PGM_RSRC2:TIDIG_COMP_CNT: 1
; COMPUTE_PGM_RSRC3_GFX90A:ACCUM_OFFSET: 4
; COMPUTE_PGM_RSRC3_GFX90A:TG_SPLIT: 0
	.section	.text._ZL18solve_tri_f32_fastILi64ELi4EEvPKfS1_Pf15HIP_vector_typeIjLj3EEmmmmmmii,"axG",@progbits,_ZL18solve_tri_f32_fastILi64ELi4EEvPKfS1_Pf15HIP_vector_typeIjLj3EEmmmmmmii,comdat
	.globl	_ZL18solve_tri_f32_fastILi64ELi4EEvPKfS1_Pf15HIP_vector_typeIjLj3EEmmmmmmii ; -- Begin function _ZL18solve_tri_f32_fastILi64ELi4EEvPKfS1_Pf15HIP_vector_typeIjLj3EEmmmmmmii
	.p2align	8
	.type	_ZL18solve_tri_f32_fastILi64ELi4EEvPKfS1_Pf15HIP_vector_typeIjLj3EEmmmmmmii,@function
_ZL18solve_tri_f32_fastILi64ELi4EEvPKfS1_Pf15HIP_vector_typeIjLj3EEmmmmmmii: ; @_ZL18solve_tri_f32_fastILi64ELi4EEvPKfS1_Pf15HIP_vector_typeIjLj3EEmmmmmmii
; %bb.0:
	v_bfe_u32 v1, v0, 10, 10
	v_cmp_gt_u32_e32 vcc, 4, v1
	s_and_saveexec_b64 s[0:1], vcc
	s_cbranch_execz .LBB8_321
; %bb.1:
	s_load_dwordx4 s[0:3], s[4:5], 0x18
	s_load_dwordx2 s[16:17], s[4:5], 0x0
	s_load_dwordx8 s[8:15], s[4:5], 0x28
	v_and_b32_e32 v0, 0x3ff, v0
	s_waitcnt lgkmcnt(0)
	s_mul_hi_u32 s0, s0, s6
	s_add_i32 s0, s6, s0
	s_lshr_b32 s33, s0, s1
	s_mul_i32 s0, s33, s2
	s_sub_i32 s44, s6, s0
	s_mul_i32 s0, s44, s9
	s_mul_hi_u32 s1, s44, s8
	s_add_i32 s1, s1, s0
	s_mul_i32 s0, s44, s8
	s_lshl_b64 s[0:1], s[0:1], 2
	s_add_u32 s2, s16, s0
	s_load_dword s6, s[4:5], 0x6c
	s_addc_u32 s3, s17, s1
	s_mul_i32 s0, s33, s11
	s_mul_hi_u32 s1, s33, s10
	s_add_i32 s1, s1, s0
	s_mul_i32 s0, s33, s10
	s_lshl_b64 s[0:1], s[0:1], 2
	s_add_u32 s0, s2, s0
	s_addc_u32 s1, s3, s1
	s_waitcnt lgkmcnt(0)
	s_and_b32 s2, s6, 0xffff
	v_mad_u32_u24 v3, v1, s2, v0
	s_movk_i32 s2, 0x1000
	v_cmp_gt_u32_e32 vcc, s2, v3
	v_lshlrev_b32_e32 v2, 2, v3
	s_and_saveexec_b64 s[2:3], vcc
	s_cbranch_execz .LBB8_3
; %bb.2:
	global_load_dword v4, v2, s[0:1]
	s_waitcnt vmcnt(0)
	ds_write_b32 v2, v4
.LBB8_3:
	s_or_b64 exec, exec, s[2:3]
	s_movk_i32 s2, 0xf80
	v_cmp_gt_u32_e32 vcc, s2, v3
	s_and_saveexec_b64 s[2:3], vcc
	s_cbranch_execz .LBB8_5
; %bb.4:
	global_load_dword v4, v2, s[0:1] offset:512
	s_waitcnt vmcnt(0)
	ds_write_b32 v2, v4 offset:512
.LBB8_5:
	s_or_b64 exec, exec, s[2:3]
	s_movk_i32 s2, 0xf00
	v_cmp_gt_u32_e32 vcc, s2, v3
	s_and_saveexec_b64 s[2:3], vcc
	s_cbranch_execz .LBB8_7
; %bb.6:
	global_load_dword v4, v2, s[0:1] offset:1024
	s_waitcnt vmcnt(0)
	ds_write_b32 v2, v4 offset:1024
.LBB8_7:
	s_or_b64 exec, exec, s[2:3]
	s_movk_i32 s2, 0xe80
	v_cmp_gt_u32_e32 vcc, s2, v3
	s_and_saveexec_b64 s[2:3], vcc
	s_cbranch_execz .LBB8_9
; %bb.8:
	global_load_dword v4, v2, s[0:1] offset:1536
	s_waitcnt vmcnt(0)
	ds_write_b32 v2, v4 offset:1536
.LBB8_9:
	s_or_b64 exec, exec, s[2:3]
	s_movk_i32 s2, 0xe00
	v_cmp_gt_u32_e32 vcc, s2, v3
	s_and_saveexec_b64 s[2:3], vcc
	s_cbranch_execz .LBB8_11
; %bb.10:
	global_load_dword v4, v2, s[0:1] offset:2048
	s_waitcnt vmcnt(0)
	ds_write_b32 v2, v4 offset:2048
.LBB8_11:
	s_or_b64 exec, exec, s[2:3]
	s_movk_i32 s2, 0xd80
	v_cmp_gt_u32_e32 vcc, s2, v3
	s_and_saveexec_b64 s[2:3], vcc
	s_cbranch_execz .LBB8_13
; %bb.12:
	global_load_dword v4, v2, s[0:1] offset:2560
	s_waitcnt vmcnt(0)
	ds_write_b32 v2, v4 offset:2560
.LBB8_13:
	s_or_b64 exec, exec, s[2:3]
	s_movk_i32 s2, 0xd00
	v_cmp_gt_u32_e32 vcc, s2, v3
	s_and_saveexec_b64 s[2:3], vcc
	s_cbranch_execz .LBB8_15
; %bb.14:
	global_load_dword v4, v2, s[0:1] offset:3072
	s_waitcnt vmcnt(0)
	ds_write_b32 v2, v4 offset:3072
.LBB8_15:
	s_or_b64 exec, exec, s[2:3]
	s_movk_i32 s2, 0xc80
	v_cmp_gt_u32_e32 vcc, s2, v3
	s_and_saveexec_b64 s[2:3], vcc
	s_cbranch_execz .LBB8_17
; %bb.16:
	global_load_dword v4, v2, s[0:1] offset:3584
	s_waitcnt vmcnt(0)
	ds_write_b32 v2, v4 offset:3584
.LBB8_17:
	s_or_b64 exec, exec, s[2:3]
	s_movk_i32 s2, 0xc00
	v_cmp_gt_u32_e32 vcc, s2, v3
	s_and_saveexec_b64 s[2:3], vcc
	s_cbranch_execz .LBB8_19
; %bb.18:
	v_add_u32_e32 v4, 0x1000, v2
	global_load_dword v4, v4, s[0:1]
	s_waitcnt vmcnt(0)
	ds_write_b32 v2, v4 offset:4096
.LBB8_19:
	s_or_b64 exec, exec, s[2:3]
	s_movk_i32 s2, 0xb80
	v_cmp_gt_u32_e32 vcc, s2, v3
	s_and_saveexec_b64 s[2:3], vcc
	s_cbranch_execz .LBB8_21
; %bb.20:
	v_add_u32_e32 v4, 0x1200, v2
	global_load_dword v4, v4, s[0:1]
	s_waitcnt vmcnt(0)
	ds_write_b32 v2, v4 offset:4608
.LBB8_21:
	;; [unrolled: 11-line block ×8, first 2 shown]
	s_or_b64 exec, exec, s[2:3]
	s_movk_i32 s2, 0x800
	v_cmp_gt_u32_e32 vcc, s2, v3
	s_and_saveexec_b64 s[2:3], vcc
	s_cbranch_execz .LBB8_35
; %bb.34:
	v_or_b32_e32 v4, 0x2000, v2
	global_load_dword v4, v4, s[0:1]
	s_waitcnt vmcnt(0)
	ds_write_b32 v2, v4 offset:8192
.LBB8_35:
	s_or_b64 exec, exec, s[2:3]
	s_movk_i32 s2, 0x780
	v_cmp_gt_u32_e32 vcc, s2, v3
	s_and_saveexec_b64 s[2:3], vcc
	s_cbranch_execz .LBB8_37
; %bb.36:
	v_add_u32_e32 v4, 0x2200, v2
	global_load_dword v4, v4, s[0:1]
	s_waitcnt vmcnt(0)
	ds_write_b32 v2, v4 offset:8704
.LBB8_37:
	s_or_b64 exec, exec, s[2:3]
	s_movk_i32 s2, 0x700
	v_cmp_gt_u32_e32 vcc, s2, v3
	s_and_saveexec_b64 s[2:3], vcc
	s_cbranch_execz .LBB8_39
; %bb.38:
	v_add_u32_e32 v4, 0x2400, v2
	global_load_dword v4, v4, s[0:1]
	s_waitcnt vmcnt(0)
	ds_write_b32 v2, v4 offset:9216
.LBB8_39:
	;; [unrolled: 11-line block ×7, first 2 shown]
	s_or_b64 exec, exec, s[2:3]
	s_movk_i32 s2, 0x400
	v_cmp_gt_u32_e32 vcc, s2, v3
	s_and_saveexec_b64 s[2:3], vcc
	s_cbranch_execz .LBB8_51
; %bb.50:
	v_or_b32_e32 v4, 0x3000, v2
	global_load_dword v4, v4, s[0:1]
	s_waitcnt vmcnt(0)
	ds_write_b32 v2, v4 offset:12288
.LBB8_51:
	s_or_b64 exec, exec, s[2:3]
	s_movk_i32 s2, 0x380
	v_cmp_gt_u32_e32 vcc, s2, v3
	s_and_saveexec_b64 s[2:3], vcc
	s_cbranch_execz .LBB8_53
; %bb.52:
	v_add_u32_e32 v4, 0x3200, v2
	global_load_dword v4, v4, s[0:1]
	s_waitcnt vmcnt(0)
	ds_write_b32 v2, v4 offset:12800
.LBB8_53:
	s_or_b64 exec, exec, s[2:3]
	s_movk_i32 s2, 0x300
	v_cmp_gt_u32_e32 vcc, s2, v3
	s_and_saveexec_b64 s[2:3], vcc
	s_cbranch_execz .LBB8_55
; %bb.54:
	v_add_u32_e32 v4, 0x3400, v2
	global_load_dword v4, v4, s[0:1]
	s_waitcnt vmcnt(0)
	ds_write_b32 v2, v4 offset:13312
.LBB8_55:
	;; [unrolled: 11-line block ×3, first 2 shown]
	s_or_b64 exec, exec, s[2:3]
	s_movk_i32 s2, 0x200
	v_cmp_gt_u32_e32 vcc, s2, v3
	s_and_saveexec_b64 s[2:3], vcc
	s_cbranch_execz .LBB8_59
; %bb.58:
	v_or_b32_e32 v4, 0x3800, v2
	global_load_dword v4, v4, s[0:1]
	s_waitcnt vmcnt(0)
	ds_write_b32 v2, v4 offset:14336
.LBB8_59:
	s_or_b64 exec, exec, s[2:3]
	s_load_dwordx4 s[8:11], s[4:5], 0x48
                                        ; implicit-def: $vgpr17 : SGPR spill to VGPR lane
	s_movk_i32 s2, 0x180
	v_cmp_gt_u32_e32 vcc, s2, v3
	s_waitcnt lgkmcnt(0)
	v_writelane_b32 v17, s8, 0
	v_writelane_b32 v17, s9, 1
	;; [unrolled: 1-line block ×4, first 2 shown]
	s_and_saveexec_b64 s[2:3], vcc
	s_cbranch_execz .LBB8_61
; %bb.60:
	v_add_u32_e32 v4, 0x3a00, v2
	global_load_dword v4, v4, s[0:1]
	s_waitcnt vmcnt(0)
	ds_write_b32 v2, v4 offset:14848
.LBB8_61:
	s_or_b64 exec, exec, s[2:3]
	s_load_dwordx2 s[2:3], s[4:5], 0x8
	s_movk_i32 s6, 0x100
	v_cmp_gt_u32_e32 vcc, s6, v3
	s_and_saveexec_b64 s[6:7], vcc
	s_cbranch_execz .LBB8_63
; %bb.62:
	v_or_b32_e32 v4, 0x3c00, v2
	global_load_dword v4, v4, s[0:1]
	s_waitcnt vmcnt(0)
	ds_write_b32 v2, v4 offset:15360
.LBB8_63:
	s_or_b64 exec, exec, s[6:7]
	s_movk_i32 s6, 0x80
	v_cmp_gt_u32_e32 vcc, s6, v3
	s_and_saveexec_b64 s[6:7], vcc
	s_cbranch_execz .LBB8_65
; %bb.64:
	v_or_b32_e32 v3, 0x3e00, v2
	global_load_dword v3, v3, s[0:1]
	s_waitcnt vmcnt(0)
	ds_write_b32 v2, v3 offset:15872
.LBB8_65:
	s_or_b64 exec, exec, s[6:7]
	s_mul_i32 s0, s44, s13
	s_mul_hi_u32 s1, s44, s12
	s_add_i32 s1, s1, s0
	s_mul_i32 s0, s44, s12
	s_mul_i32 s6, s33, s15
	s_mul_hi_u32 s7, s33, s14
	s_add_i32 s7, s7, s6
	s_lshl_b64 s[0:1], s[0:1], 2
	s_mul_i32 s6, s33, s14
	s_waitcnt lgkmcnt(0)
	s_add_u32 s2, s2, s0
	s_addc_u32 s3, s3, s1
	s_lshl_b64 s[0:1], s[6:7], 2
	s_add_u32 s0, s2, s0
	s_addc_u32 s1, s3, s1
	v_mov_b32_e32 v9, 0
	v_lshlrev_b32_e32 v1, 2, v1
	v_mov_b32_e32 v10, 0
	s_barrier
	v_cmp_gt_u32_e64 s[6:7], 64, v0
	s_mov_b64 s[2:3], exec
	v_writelane_b32 v17, s6, 4
	v_writelane_b32 v17, s7, 5
	s_and_b64 s[6:7], s[2:3], s[6:7]
	s_mov_b64 exec, s[6:7]
	s_cbranch_execz .LBB8_67
; %bb.66:
	v_lshl_or_b32 v2, v0, 4, v1
	global_load_dword v10, v2, s[0:1]
.LBB8_67:
	s_or_b64 exec, exec, s[2:3]
	v_add_u32_e32 v2, 32, v0
	v_cmp_gt_u32_e64 s[6:7], 32, v0
	s_mov_b64 s[2:3], exec
	v_writelane_b32 v17, s6, 6
	v_writelane_b32 v17, s7, 7
	s_and_b64 s[6:7], s[2:3], s[6:7]
	s_mov_b64 exec, s[6:7]
	s_cbranch_execz .LBB8_69
; %bb.68:
	v_lshl_or_b32 v3, v2, 4, v1
	global_load_dword v9, v3, s[0:1]
.LBB8_69:
	s_or_b64 exec, exec, s[2:3]
	v_mbcnt_lo_u32_b32 v3, -1, 0
	v_mbcnt_hi_u32_b32 v7, -1, v3
	v_and_b32_e32 v3, 0x60, v7
	v_add_u32_e32 v11, 32, v3
	v_xor_b32_e32 v3, 16, v7
	v_cmp_lt_i32_e32 vcc, v3, v11
	v_cndmask_b32_e32 v3, v7, v3, vcc
	v_mov_b32_e32 v8, 0
	v_lshlrev_b32_e32 v3, 2, v3
	ds_bpermute_b32 v5, v3, v8
	v_xor_b32_e32 v4, 8, v7
	v_cmp_lt_i32_e32 vcc, v4, v11
	v_cndmask_b32_e32 v4, v7, v4, vcc
	v_lshlrev_b32_e32 v4, 2, v4
	s_waitcnt lgkmcnt(0)
	v_add_f32_e32 v6, 0, v5
	ds_bpermute_b32 v12, v4, v6
	v_xor_b32_e32 v5, 4, v7
	v_cmp_lt_i32_e32 vcc, v5, v11
	v_cndmask_b32_e32 v5, v7, v5, vcc
	v_lshlrev_b32_e32 v5, 2, v5
	s_waitcnt lgkmcnt(0)
	v_add_f32_e32 v12, v6, v12
	;; [unrolled: 7-line block ×4, first 2 shown]
	ds_bpermute_b32 v12, v7, v11
	v_cmp_eq_u32_e64 s[6:7], 0, v0
	s_and_saveexec_b64 s[0:1], s[6:7]
	s_cbranch_execz .LBB8_71
; %bb.70:
	ds_read_b32 v13, v8
	s_waitcnt lgkmcnt(1)
	v_add_f32_e32 v11, v11, v12
	s_waitcnt vmcnt(0)
	v_sub_f32_e32 v10, v10, v11
	s_waitcnt lgkmcnt(0)
	v_div_scale_f32 v11, s[2:3], v13, v13, v10
	v_rcp_f32_e32 v12, v11
	v_div_scale_f32 v14, vcc, v10, v13, v10
	v_fma_f32 v15, -v11, v12, 1.0
	v_fmac_f32_e32 v12, v15, v12
	v_mul_f32_e32 v15, v14, v12
	v_fma_f32 v16, -v11, v15, v14
	v_fmac_f32_e32 v15, v16, v12
	v_fma_f32 v11, -v11, v15, v14
	v_div_fmas_f32 v11, v11, v12, v15
	v_div_fixup_f32 v10, v11, v13, v10
.LBB8_71:
	s_or_b64 exec, exec, s[0:1]
	ds_read_b32 v8, v8 offset:256
	v_cmp_eq_u32_e64 s[2:3], 1, v0
	s_waitcnt vmcnt(0) lgkmcnt(0)
	v_fma_f32 v8, v10, v8, 0
	v_cndmask_b32_e64 v8, 0, v8, s[6:7]
	ds_bpermute_b32 v11, v3, v8
	s_waitcnt lgkmcnt(0)
	v_add_f32_e32 v8, v8, v11
	ds_bpermute_b32 v11, v4, v8
	s_waitcnt lgkmcnt(0)
	v_add_f32_e32 v8, v8, v11
	;; [unrolled: 3-line block ×4, first 2 shown]
	ds_bpermute_b32 v11, v7, v8
	s_mov_b64 s[0:1], exec
	v_writelane_b32 v17, s2, 8
	v_writelane_b32 v17, s3, 9
	s_and_b64 s[2:3], s[0:1], s[2:3]
	s_mov_b64 exec, s[2:3]
	s_cbranch_execz .LBB8_73
; %bb.72:
	v_mov_b32_e32 v12, 0
	ds_read_b32 v12, v12 offset:260
	s_waitcnt lgkmcnt(1)
	v_add_f32_e32 v8, v8, v11
	v_sub_f32_e32 v8, v10, v8
	s_waitcnt lgkmcnt(0)
	v_div_scale_f32 v10, s[2:3], v12, v12, v8
	v_rcp_f32_e32 v11, v10
	v_div_scale_f32 v13, vcc, v8, v12, v8
	v_fma_f32 v14, -v10, v11, 1.0
	v_fmac_f32_e32 v11, v14, v11
	v_mul_f32_e32 v14, v13, v11
	v_fma_f32 v15, -v10, v14, v13
	v_fmac_f32_e32 v14, v15, v11
	v_fma_f32 v10, -v10, v14, v13
	v_div_fmas_f32 v10, v10, v11, v14
	v_div_fixup_f32 v10, v10, v12, v8
.LBB8_73:
	s_or_b64 exec, exec, s[0:1]
	s_waitcnt lgkmcnt(0)
	v_mov_b32_e32 v11, 0
	v_lshlrev_b32_e32 v8, 2, v0
	v_cmp_gt_u32_e64 s[2:3], 2, v0
	s_mov_b64 s[0:1], exec
	v_writelane_b32 v17, s2, 10
	v_writelane_b32 v17, s3, 11
	s_and_b64 s[2:3], s[0:1], s[2:3]
	s_mov_b64 exec, s[2:3]
	s_cbranch_execz .LBB8_75
; %bb.74:
	ds_read_b32 v11, v8 offset:512
	s_waitcnt lgkmcnt(0)
	v_fma_f32 v11, v10, v11, 0
.LBB8_75:
	s_or_b64 exec, exec, s[0:1]
	ds_bpermute_b32 v12, v3, v11
	v_cmp_eq_u32_e64 s[74:75], 2, v0
	s_waitcnt lgkmcnt(0)
	v_add_f32_e32 v11, v11, v12
	ds_bpermute_b32 v12, v4, v11
	s_waitcnt lgkmcnt(0)
	v_add_f32_e32 v11, v11, v12
	ds_bpermute_b32 v12, v5, v11
	s_waitcnt lgkmcnt(0)
	v_add_f32_e32 v11, v11, v12
	ds_bpermute_b32 v12, v6, v11
	s_waitcnt lgkmcnt(0)
	v_add_f32_e32 v11, v11, v12
	ds_bpermute_b32 v12, v7, v11
	s_and_saveexec_b64 s[0:1], s[74:75]
	s_cbranch_execz .LBB8_77
; %bb.76:
	v_mov_b32_e32 v13, 0
	ds_read_b32 v13, v13 offset:520
	s_waitcnt lgkmcnt(1)
	v_add_f32_e32 v11, v11, v12
	v_sub_f32_e32 v10, v10, v11
	s_waitcnt lgkmcnt(0)
	v_div_scale_f32 v11, s[2:3], v13, v13, v10
	v_rcp_f32_e32 v12, v11
	v_div_scale_f32 v14, vcc, v10, v13, v10
	v_fma_f32 v15, -v11, v12, 1.0
	v_fmac_f32_e32 v12, v15, v12
	v_mul_f32_e32 v15, v14, v12
	v_fma_f32 v16, -v11, v15, v14
	v_fmac_f32_e32 v15, v16, v12
	v_fma_f32 v11, -v11, v15, v14
	v_div_fmas_f32 v11, v11, v12, v15
	v_div_fixup_f32 v10, v11, v13, v10
.LBB8_77:
	s_or_b64 exec, exec, s[0:1]
	v_mov_b32_e32 v11, 0
	v_cmp_gt_u32_e64 s[2:3], 3, v0
	s_mov_b64 s[0:1], exec
	v_writelane_b32 v17, s2, 12
	v_writelane_b32 v17, s3, 13
	s_and_b64 s[2:3], s[0:1], s[2:3]
	s_mov_b64 exec, s[2:3]
	s_cbranch_execz .LBB8_79
; %bb.78:
	ds_read_b32 v11, v8 offset:768
	s_waitcnt lgkmcnt(0)
	v_fma_f32 v11, v10, v11, 0
.LBB8_79:
	s_or_b64 exec, exec, s[0:1]
	s_waitcnt lgkmcnt(0)
	ds_bpermute_b32 v12, v3, v11
	v_cmp_eq_u32_e64 s[76:77], 3, v0
	s_waitcnt lgkmcnt(0)
	v_add_f32_e32 v11, v11, v12
	ds_bpermute_b32 v12, v4, v11
	s_waitcnt lgkmcnt(0)
	v_add_f32_e32 v11, v11, v12
	ds_bpermute_b32 v12, v5, v11
	s_waitcnt lgkmcnt(0)
	v_add_f32_e32 v11, v11, v12
	ds_bpermute_b32 v12, v6, v11
	s_waitcnt lgkmcnt(0)
	v_add_f32_e32 v11, v11, v12
	ds_bpermute_b32 v12, v7, v11
	s_and_saveexec_b64 s[0:1], s[76:77]
	s_cbranch_execz .LBB8_81
; %bb.80:
	v_mov_b32_e32 v13, 0
	ds_read_b32 v13, v13 offset:780
	s_waitcnt lgkmcnt(1)
	v_add_f32_e32 v11, v11, v12
	v_sub_f32_e32 v10, v10, v11
	s_waitcnt lgkmcnt(0)
	v_div_scale_f32 v11, s[2:3], v13, v13, v10
	v_rcp_f32_e32 v12, v11
	v_div_scale_f32 v14, vcc, v10, v13, v10
	v_fma_f32 v15, -v11, v12, 1.0
	v_fmac_f32_e32 v12, v15, v12
	v_mul_f32_e32 v15, v14, v12
	v_fma_f32 v16, -v11, v15, v14
	v_fmac_f32_e32 v15, v16, v12
	v_fma_f32 v11, -v11, v15, v14
	v_div_fmas_f32 v11, v11, v12, v15
	v_div_fixup_f32 v10, v11, v13, v10
.LBB8_81:
	s_or_b64 exec, exec, s[0:1]
	v_mov_b32_e32 v11, 0
	v_cmp_gt_u32_e64 s[2:3], 4, v0
	s_mov_b64 s[0:1], exec
	v_writelane_b32 v17, s2, 14
	v_writelane_b32 v17, s3, 15
	s_and_b64 s[2:3], s[0:1], s[2:3]
	s_mov_b64 exec, s[2:3]
	s_cbranch_execz .LBB8_83
; %bb.82:
	ds_read_b32 v11, v8 offset:1024
	s_waitcnt lgkmcnt(0)
	v_fma_f32 v11, v10, v11, 0
.LBB8_83:
	s_or_b64 exec, exec, s[0:1]
	s_waitcnt lgkmcnt(0)
	;; [unrolled: 51-line block ×14, first 2 shown]
	ds_bpermute_b32 v12, v3, v11
	v_cmp_eq_u32_e64 s[10:11], 16, v0
	s_waitcnt lgkmcnt(0)
	v_add_f32_e32 v11, v11, v12
	ds_bpermute_b32 v12, v4, v11
	s_waitcnt lgkmcnt(0)
	v_add_f32_e32 v11, v11, v12
	ds_bpermute_b32 v12, v5, v11
	s_waitcnt lgkmcnt(0)
	v_add_f32_e32 v11, v11, v12
	ds_bpermute_b32 v12, v6, v11
	s_waitcnt lgkmcnt(0)
	v_add_f32_e32 v11, v11, v12
	ds_bpermute_b32 v12, v7, v11
	s_and_saveexec_b64 s[12:13], s[10:11]
	s_cbranch_execz .LBB8_133
; %bb.132:
	v_mov_b32_e32 v13, 0
	ds_read_b32 v13, v13 offset:4160
	s_waitcnt lgkmcnt(1)
	v_add_f32_e32 v11, v11, v12
	v_sub_f32_e32 v10, v10, v11
	s_waitcnt lgkmcnt(0)
	v_div_scale_f32 v11, s[14:15], v13, v13, v10
	v_rcp_f32_e32 v12, v11
	v_div_scale_f32 v14, vcc, v10, v13, v10
	v_fma_f32 v15, -v11, v12, 1.0
	v_fmac_f32_e32 v12, v15, v12
	v_mul_f32_e32 v15, v14, v12
	v_fma_f32 v16, -v11, v15, v14
	v_fmac_f32_e32 v15, v16, v12
	v_fma_f32 v11, -v11, v15, v14
	v_div_fmas_f32 v11, v11, v12, v15
	v_div_fixup_f32 v10, v11, v13, v10
.LBB8_133:
	s_or_b64 exec, exec, s[12:13]
	v_cmp_gt_u32_e64 s[46:47], 17, v0
	v_mov_b32_e32 v11, 0
	s_and_saveexec_b64 s[12:13], s[46:47]
	s_cbranch_execz .LBB8_135
; %bb.134:
	ds_read_b32 v11, v8 offset:4352
	s_waitcnt lgkmcnt(0)
	v_fma_f32 v11, v10, v11, 0
.LBB8_135:
	s_or_b64 exec, exec, s[12:13]
	s_waitcnt lgkmcnt(0)
	ds_bpermute_b32 v12, v3, v11
	v_cmp_eq_u32_e64 s[12:13], 17, v0
	s_waitcnt lgkmcnt(0)
	v_add_f32_e32 v11, v11, v12
	ds_bpermute_b32 v12, v4, v11
	s_waitcnt lgkmcnt(0)
	v_add_f32_e32 v11, v11, v12
	ds_bpermute_b32 v12, v5, v11
	s_waitcnt lgkmcnt(0)
	v_add_f32_e32 v11, v11, v12
	ds_bpermute_b32 v12, v6, v11
	s_waitcnt lgkmcnt(0)
	v_add_f32_e32 v11, v11, v12
	ds_bpermute_b32 v12, v7, v11
	s_and_saveexec_b64 s[14:15], s[12:13]
	s_cbranch_execz .LBB8_137
; %bb.136:
	v_mov_b32_e32 v13, 0
	ds_read_b32 v13, v13 offset:4420
	s_waitcnt lgkmcnt(1)
	v_add_f32_e32 v11, v11, v12
	v_sub_f32_e32 v10, v10, v11
	s_waitcnt lgkmcnt(0)
	v_div_scale_f32 v11, s[16:17], v13, v13, v10
	v_rcp_f32_e32 v12, v11
	v_div_scale_f32 v14, vcc, v10, v13, v10
	v_fma_f32 v15, -v11, v12, 1.0
	v_fmac_f32_e32 v12, v15, v12
	v_mul_f32_e32 v15, v14, v12
	v_fma_f32 v16, -v11, v15, v14
	v_fmac_f32_e32 v15, v16, v12
	v_fma_f32 v11, -v11, v15, v14
	v_div_fmas_f32 v11, v11, v12, v15
	v_div_fixup_f32 v10, v11, v13, v10
.LBB8_137:
	s_or_b64 exec, exec, s[14:15]
	v_cmp_gt_u32_e64 s[48:49], 18, v0
	v_mov_b32_e32 v11, 0
	s_and_saveexec_b64 s[14:15], s[48:49]
	s_cbranch_execz .LBB8_139
; %bb.138:
	ds_read_b32 v11, v8 offset:4608
	s_waitcnt lgkmcnt(0)
	v_fma_f32 v11, v10, v11, 0
.LBB8_139:
	s_or_b64 exec, exec, s[14:15]
	s_waitcnt lgkmcnt(0)
	;; [unrolled: 47-line block ×14, first 2 shown]
	ds_bpermute_b32 v12, v3, v11
	v_cmp_eq_u32_e64 s[40:41], 30, v0
	s_waitcnt lgkmcnt(0)
	v_add_f32_e32 v11, v11, v12
	ds_bpermute_b32 v12, v4, v11
	s_waitcnt lgkmcnt(0)
	v_add_f32_e32 v11, v11, v12
	ds_bpermute_b32 v12, v5, v11
	;; [unrolled: 3-line block ×4, first 2 shown]
	s_and_saveexec_b64 s[42:43], s[40:41]
	s_cbranch_execz .LBB8_189
; %bb.188:
	v_mov_b32_e32 v13, 0
	ds_read_b32 v13, v13 offset:7800
	s_waitcnt lgkmcnt(1)
	v_add_f32_e32 v11, v11, v12
	v_sub_f32_e32 v10, v10, v11
	s_waitcnt lgkmcnt(0)
	v_div_scale_f32 v11, vcc, v13, v13, v10
	v_rcp_f32_e32 v12, v11
	v_div_scale_f32 v14, vcc, v10, v13, v10
	v_fma_f32 v15, -v11, v12, 1.0
	v_fmac_f32_e32 v12, v15, v12
	v_mul_f32_e32 v15, v14, v12
	v_fma_f32 v16, -v11, v15, v14
	v_fmac_f32_e32 v15, v16, v12
	v_fma_f32 v11, -v11, v15, v14
	v_div_fmas_f32 v11, v11, v12, v15
	v_div_fixup_f32 v10, v11, v13, v10
.LBB8_189:
	s_or_b64 exec, exec, s[42:43]
	v_mov_b32_e32 v11, 0
	v_cmp_gt_u32_e32 vcc, 31, v0
	s_mov_b64 s[42:43], exec
	v_writelane_b32 v17, vcc_lo, 40
	v_writelane_b32 v17, vcc_hi, 41
	s_and_b64 vcc, s[42:43], vcc
	s_mov_b64 exec, vcc
	s_cbranch_execz .LBB8_191
; %bb.190:
	ds_read_b32 v11, v8 offset:7936
	s_waitcnt lgkmcnt(0)
	v_fma_f32 v11, v10, v11, 0
.LBB8_191:
	s_or_b64 exec, exec, s[42:43]
	s_waitcnt lgkmcnt(0)
	ds_bpermute_b32 v12, v3, v11
	v_cmp_eq_u32_e32 vcc, 31, v0
	s_waitcnt lgkmcnt(0)
	v_add_f32_e32 v11, v11, v12
	ds_bpermute_b32 v12, v4, v11
	s_waitcnt lgkmcnt(0)
	v_add_f32_e32 v11, v11, v12
	ds_bpermute_b32 v12, v5, v11
	;; [unrolled: 3-line block ×4, first 2 shown]
	s_mov_b64 s[42:43], exec
	v_writelane_b32 v17, vcc_lo, 42
	v_writelane_b32 v17, vcc_hi, 43
	s_and_b64 vcc, s[42:43], vcc
	s_mov_b64 exec, vcc
	s_cbranch_execz .LBB8_193
; %bb.192:
	v_mov_b32_e32 v13, 0
	ds_read_b32 v13, v13 offset:8060
	s_waitcnt lgkmcnt(1)
	v_add_f32_e32 v11, v11, v12
	v_sub_f32_e32 v10, v10, v11
	s_waitcnt lgkmcnt(0)
	v_div_scale_f32 v11, vcc, v13, v13, v10
	v_rcp_f32_e32 v12, v11
	v_div_scale_f32 v14, vcc, v10, v13, v10
	v_fma_f32 v15, -v11, v12, 1.0
	v_fmac_f32_e32 v12, v15, v12
	v_mul_f32_e32 v15, v14, v12
	v_fma_f32 v16, -v11, v15, v14
	v_fmac_f32_e32 v15, v16, v12
	v_fma_f32 v11, -v11, v15, v14
	v_div_fmas_f32 v11, v11, v12, v15
	v_div_fixup_f32 v10, v11, v13, v10
.LBB8_193:
	s_or_b64 exec, exec, s[42:43]
	ds_read_b32 v11, v8 offset:8192
	s_waitcnt lgkmcnt(0)
	v_mul_f32_e32 v12, v10, v11
	ds_bpermute_b32 v12, v3, v12
	s_waitcnt lgkmcnt(0)
	v_fmac_f32_e32 v12, v10, v11
	ds_bpermute_b32 v11, v4, v12
	s_waitcnt lgkmcnt(0)
	v_add_f32_e32 v11, v12, v11
	ds_bpermute_b32 v12, v5, v11
	s_waitcnt lgkmcnt(0)
	v_add_f32_e32 v11, v11, v12
	;; [unrolled: 3-line block ×3, first 2 shown]
	ds_bpermute_b32 v12, v7, v11
	s_and_saveexec_b64 s[42:43], s[6:7]
	s_cbranch_execz .LBB8_195
; %bb.194:
	v_mov_b32_e32 v13, 0
	ds_read_b32 v13, v13 offset:8320
	s_waitcnt lgkmcnt(1)
	v_add_f32_e32 v11, v11, v12
	v_sub_f32_e32 v9, v9, v11
	s_waitcnt lgkmcnt(0)
	v_div_scale_f32 v11, vcc, v13, v13, v9
	v_rcp_f32_e32 v12, v11
	v_div_scale_f32 v14, vcc, v9, v13, v9
	v_fma_f32 v15, -v11, v12, 1.0
	v_fmac_f32_e32 v12, v15, v12
	v_mul_f32_e32 v15, v14, v12
	v_fma_f32 v16, -v11, v15, v14
	v_fmac_f32_e32 v15, v16, v12
	v_fma_f32 v11, -v11, v15, v14
	v_div_fmas_f32 v11, v11, v12, v15
	v_div_fixup_f32 v9, v11, v13, v9
.LBB8_195:
	s_or_b64 exec, exec, s[42:43]
	v_mov_b32_e32 v11, 0
	s_waitcnt lgkmcnt(0)
	ds_read_b32 v12, v8 offset:8448
	ds_read_b32 v13, v11 offset:8576
	s_waitcnt lgkmcnt(1)
	v_mul_f32_e32 v12, v10, v12
	s_waitcnt lgkmcnt(0)
	v_fma_f32 v13, v9, v13, v12
	v_cndmask_b32_e64 v12, v12, v13, s[6:7]
	ds_bpermute_b32 v13, v3, v12
	s_waitcnt lgkmcnt(0)
	v_add_f32_e32 v12, v12, v13
	ds_bpermute_b32 v13, v4, v12
	s_waitcnt lgkmcnt(0)
	v_add_f32_e32 v12, v12, v13
	;; [unrolled: 3-line block ×4, first 2 shown]
	ds_bpermute_b32 v13, v7, v12
	s_mov_b64 s[6:7], exec
	v_readlane_b32 s42, v17, 8
	v_readlane_b32 s43, v17, 9
	s_and_b64 s[42:43], s[6:7], s[42:43]
	s_mov_b64 exec, s[42:43]
	s_cbranch_execz .LBB8_197
; %bb.196:
	ds_read_b32 v11, v11 offset:8580
	s_waitcnt lgkmcnt(1)
	v_add_f32_e32 v12, v12, v13
	v_sub_f32_e32 v9, v9, v12
	s_waitcnt lgkmcnt(0)
	v_div_scale_f32 v12, s[42:43], v11, v11, v9
	v_rcp_f32_e32 v13, v12
	v_div_scale_f32 v14, vcc, v9, v11, v9
	v_fma_f32 v15, -v12, v13, 1.0
	v_fmac_f32_e32 v13, v15, v13
	v_mul_f32_e32 v15, v14, v13
	v_fma_f32 v16, -v12, v15, v14
	v_fmac_f32_e32 v15, v16, v13
	v_fma_f32 v12, -v12, v15, v14
	v_div_fmas_f32 v12, v12, v13, v15
	v_div_fixup_f32 v9, v12, v11, v9
.LBB8_197:
	s_or_b64 exec, exec, s[6:7]
	ds_read_b32 v11, v8 offset:8704
	s_waitcnt lgkmcnt(0)
	v_mul_f32_e32 v11, v10, v11
	s_mov_b64 s[6:7], exec
	v_readlane_b32 s42, v17, 10
	v_readlane_b32 s43, v17, 11
	s_and_b64 s[42:43], s[6:7], s[42:43]
	s_mov_b64 exec, s[42:43]
	s_cbranch_execz .LBB8_199
; %bb.198:
	ds_read_b32 v12, v8 offset:8832
	s_waitcnt lgkmcnt(0)
	v_fmac_f32_e32 v11, v9, v12
.LBB8_199:
	s_or_b64 exec, exec, s[6:7]
	ds_bpermute_b32 v12, v3, v11
	s_waitcnt lgkmcnt(0)
	v_add_f32_e32 v11, v11, v12
	ds_bpermute_b32 v12, v4, v11
	s_waitcnt lgkmcnt(0)
	v_add_f32_e32 v11, v11, v12
	ds_bpermute_b32 v12, v5, v11
	s_waitcnt lgkmcnt(0)
	v_add_f32_e32 v11, v11, v12
	ds_bpermute_b32 v12, v6, v11
	s_waitcnt lgkmcnt(0)
	v_add_f32_e32 v11, v11, v12
	ds_bpermute_b32 v12, v7, v11
	s_and_saveexec_b64 s[6:7], s[74:75]
	s_cbranch_execz .LBB8_201
; %bb.200:
	v_mov_b32_e32 v13, 0
	ds_read_b32 v13, v13 offset:8840
	s_waitcnt lgkmcnt(1)
	v_add_f32_e32 v11, v11, v12
	v_sub_f32_e32 v9, v9, v11
	s_waitcnt lgkmcnt(0)
	v_div_scale_f32 v11, s[42:43], v13, v13, v9
	v_rcp_f32_e32 v12, v11
	v_div_scale_f32 v14, vcc, v9, v13, v9
	v_fma_f32 v15, -v11, v12, 1.0
	v_fmac_f32_e32 v12, v15, v12
	v_mul_f32_e32 v15, v14, v12
	v_fma_f32 v16, -v11, v15, v14
	v_fmac_f32_e32 v15, v16, v12
	v_fma_f32 v11, -v11, v15, v14
	v_div_fmas_f32 v11, v11, v12, v15
	v_div_fixup_f32 v9, v11, v13, v9
.LBB8_201:
	s_or_b64 exec, exec, s[6:7]
	ds_read_b32 v11, v8 offset:8960
	s_waitcnt lgkmcnt(0)
	v_mul_f32_e32 v11, v10, v11
	s_mov_b64 s[6:7], exec
	v_readlane_b32 s42, v17, 12
	v_readlane_b32 s43, v17, 13
	s_and_b64 s[42:43], s[6:7], s[42:43]
	s_mov_b64 exec, s[42:43]
	s_cbranch_execz .LBB8_203
; %bb.202:
	ds_read_b32 v12, v8 offset:9088
	s_waitcnt lgkmcnt(0)
	v_fmac_f32_e32 v11, v9, v12
.LBB8_203:
	s_or_b64 exec, exec, s[6:7]
	ds_bpermute_b32 v12, v3, v11
	s_waitcnt lgkmcnt(0)
	v_add_f32_e32 v11, v11, v12
	ds_bpermute_b32 v12, v4, v11
	s_waitcnt lgkmcnt(0)
	v_add_f32_e32 v11, v11, v12
	ds_bpermute_b32 v12, v5, v11
	s_waitcnt lgkmcnt(0)
	v_add_f32_e32 v11, v11, v12
	ds_bpermute_b32 v12, v6, v11
	s_waitcnt lgkmcnt(0)
	v_add_f32_e32 v11, v11, v12
	ds_bpermute_b32 v12, v7, v11
	s_and_saveexec_b64 s[6:7], s[76:77]
	s_cbranch_execz .LBB8_205
; %bb.204:
	v_mov_b32_e32 v13, 0
	ds_read_b32 v13, v13 offset:9100
	s_waitcnt lgkmcnt(1)
	v_add_f32_e32 v11, v11, v12
	v_sub_f32_e32 v9, v9, v11
	s_waitcnt lgkmcnt(0)
	v_div_scale_f32 v11, s[42:43], v13, v13, v9
	v_rcp_f32_e32 v12, v11
	v_div_scale_f32 v14, vcc, v9, v13, v9
	v_fma_f32 v15, -v11, v12, 1.0
	v_fmac_f32_e32 v12, v15, v12
	v_mul_f32_e32 v15, v14, v12
	v_fma_f32 v16, -v11, v15, v14
	v_fmac_f32_e32 v15, v16, v12
	v_fma_f32 v11, -v11, v15, v14
	v_div_fmas_f32 v11, v11, v12, v15
	v_div_fixup_f32 v9, v11, v13, v9
.LBB8_205:
	;; [unrolled: 50-line block ×15, first 2 shown]
	s_or_b64 exec, exec, s[0:1]
	ds_read_b32 v11, v8 offset:12544
	s_waitcnt lgkmcnt(0)
	v_mul_f32_e32 v11, v10, v11
	s_and_saveexec_b64 s[0:1], s[46:47]
	s_cbranch_execz .LBB8_259
; %bb.258:
	ds_read_b32 v12, v8 offset:12672
	s_waitcnt lgkmcnt(0)
	v_fmac_f32_e32 v11, v9, v12
.LBB8_259:
	s_or_b64 exec, exec, s[0:1]
	ds_bpermute_b32 v12, v3, v11
	s_waitcnt lgkmcnt(0)
	v_add_f32_e32 v11, v11, v12
	ds_bpermute_b32 v12, v4, v11
	s_waitcnt lgkmcnt(0)
	v_add_f32_e32 v11, v11, v12
	ds_bpermute_b32 v12, v5, v11
	s_waitcnt lgkmcnt(0)
	v_add_f32_e32 v11, v11, v12
	ds_bpermute_b32 v12, v6, v11
	s_waitcnt lgkmcnt(0)
	v_add_f32_e32 v11, v11, v12
	ds_bpermute_b32 v12, v7, v11
	s_and_saveexec_b64 s[0:1], s[12:13]
	s_cbranch_execz .LBB8_261
; %bb.260:
	v_mov_b32_e32 v13, 0
	ds_read_b32 v13, v13 offset:12740
	s_waitcnt lgkmcnt(1)
	v_add_f32_e32 v11, v11, v12
	v_sub_f32_e32 v9, v9, v11
	s_waitcnt lgkmcnt(0)
	v_div_scale_f32 v11, s[2:3], v13, v13, v9
	v_rcp_f32_e32 v12, v11
	v_div_scale_f32 v14, vcc, v9, v13, v9
	v_fma_f32 v15, -v11, v12, 1.0
	v_fmac_f32_e32 v12, v15, v12
	v_mul_f32_e32 v15, v14, v12
	v_fma_f32 v16, -v11, v15, v14
	v_fmac_f32_e32 v15, v16, v12
	v_fma_f32 v11, -v11, v15, v14
	v_div_fmas_f32 v11, v11, v12, v15
	v_div_fixup_f32 v9, v11, v13, v9
.LBB8_261:
	s_or_b64 exec, exec, s[0:1]
	ds_read_b32 v11, v8 offset:12800
	s_waitcnt lgkmcnt(0)
	v_mul_f32_e32 v11, v10, v11
	s_and_saveexec_b64 s[0:1], s[48:49]
	s_cbranch_execz .LBB8_263
; %bb.262:
	ds_read_b32 v12, v8 offset:12928
	s_waitcnt lgkmcnt(0)
	v_fmac_f32_e32 v11, v9, v12
.LBB8_263:
	s_or_b64 exec, exec, s[0:1]
	ds_bpermute_b32 v12, v3, v11
	s_waitcnt lgkmcnt(0)
	v_add_f32_e32 v11, v11, v12
	ds_bpermute_b32 v12, v4, v11
	s_waitcnt lgkmcnt(0)
	v_add_f32_e32 v11, v11, v12
	ds_bpermute_b32 v12, v5, v11
	s_waitcnt lgkmcnt(0)
	v_add_f32_e32 v11, v11, v12
	ds_bpermute_b32 v12, v6, v11
	s_waitcnt lgkmcnt(0)
	v_add_f32_e32 v11, v11, v12
	ds_bpermute_b32 v12, v7, v11
	s_and_saveexec_b64 s[0:1], s[14:15]
	s_cbranch_execz .LBB8_265
; %bb.264:
	v_mov_b32_e32 v13, 0
	ds_read_b32 v13, v13 offset:13000
	s_waitcnt lgkmcnt(1)
	v_add_f32_e32 v11, v11, v12
	v_sub_f32_e32 v9, v9, v11
	s_waitcnt lgkmcnt(0)
	v_div_scale_f32 v11, s[2:3], v13, v13, v9
	v_rcp_f32_e32 v12, v11
	v_div_scale_f32 v14, vcc, v9, v13, v9
	v_fma_f32 v15, -v11, v12, 1.0
	v_fmac_f32_e32 v12, v15, v12
	v_mul_f32_e32 v15, v14, v12
	v_fma_f32 v16, -v11, v15, v14
	v_fmac_f32_e32 v15, v16, v12
	v_fma_f32 v11, -v11, v15, v14
	v_div_fmas_f32 v11, v11, v12, v15
	v_div_fixup_f32 v9, v11, v13, v9
.LBB8_265:
	;; [unrolled: 46-line block ×14, first 2 shown]
	s_or_b64 exec, exec, s[0:1]
	ds_read_b32 v11, v8 offset:16128
	s_load_dwordx2 s[0:1], s[4:5], 0x10
	s_waitcnt lgkmcnt(0)
	v_mul_f32_e32 v11, v10, v11
	s_mov_b64 s[2:3], exec
	v_readlane_b32 s4, v17, 40
	v_readlane_b32 s5, v17, 41
	s_and_b64 s[4:5], s[2:3], s[4:5]
	s_mov_b64 exec, s[4:5]
	s_cbranch_execz .LBB8_315
; %bb.314:
	ds_read_b32 v8, v8 offset:16256
	s_waitcnt lgkmcnt(0)
	v_fmac_f32_e32 v11, v9, v8
.LBB8_315:
	s_or_b64 exec, exec, s[2:3]
	ds_bpermute_b32 v3, v3, v11
	s_waitcnt lgkmcnt(0)
	v_add_f32_e32 v3, v11, v3
	ds_bpermute_b32 v4, v4, v3
	s_waitcnt lgkmcnt(0)
	v_add_f32_e32 v3, v3, v4
	;; [unrolled: 3-line block ×4, first 2 shown]
	ds_bpermute_b32 v4, v7, v3
	s_mov_b64 s[2:3], exec
	v_readlane_b32 s4, v17, 42
	v_readlane_b32 s5, v17, 43
	s_and_b64 s[4:5], s[2:3], s[4:5]
	s_mov_b64 exec, s[4:5]
	s_cbranch_execz .LBB8_317
; %bb.316:
	v_mov_b32_e32 v5, 0
	ds_read_b32 v5, v5 offset:16380
	s_waitcnt lgkmcnt(1)
	v_add_f32_e32 v3, v3, v4
	v_sub_f32_e32 v3, v9, v3
	s_waitcnt lgkmcnt(0)
	v_div_scale_f32 v4, s[4:5], v5, v5, v3
	v_rcp_f32_e32 v6, v4
	v_div_scale_f32 v7, vcc, v3, v5, v3
	v_fma_f32 v8, -v4, v6, 1.0
	v_fmac_f32_e32 v6, v8, v6
	v_mul_f32_e32 v8, v7, v6
	v_fma_f32 v9, -v4, v8, v7
	v_fmac_f32_e32 v8, v9, v6
	v_fma_f32 v4, -v4, v8, v7
	v_div_fmas_f32 v4, v4, v6, v8
	v_div_fixup_f32 v9, v4, v5, v3
.LBB8_317:
	s_or_b64 exec, exec, s[2:3]
	v_readlane_b32 s4, v17, 0
	v_readlane_b32 s5, v17, 1
	;; [unrolled: 1-line block ×4, first 2 shown]
	s_mul_i32 s2, s44, s5
	s_mul_hi_u32 s3, s44, s4
	s_add_i32 s3, s3, s2
	s_mul_i32 s2, s44, s4
	s_mul_i32 s4, s33, s7
	s_mul_hi_u32 s5, s33, s6
	s_add_i32 s5, s5, s4
	s_lshl_b64 s[2:3], s[2:3], 2
	s_mul_i32 s4, s33, s6
	s_add_u32 s2, s0, s2
	s_addc_u32 s3, s1, s3
	s_lshl_b64 s[0:1], s[4:5], 2
	s_add_u32 s0, s2, s0
	s_addc_u32 s1, s3, s1
	s_mov_b64 s[2:3], exec
	v_readlane_b32 s4, v17, 4
	v_readlane_b32 s5, v17, 5
	s_and_b64 s[4:5], s[2:3], s[4:5]
	s_mov_b64 exec, s[4:5]
	s_cbranch_execz .LBB8_319
; %bb.318:
	v_readlane_b32 s4, v17, 6
	v_readlane_b32 s5, v17, 7
	v_lshl_or_b32 v0, v0, 4, v1
	v_cndmask_b32_e64 v3, v9, v10, s[4:5]
	global_store_dword v0, v3, s[0:1]
.LBB8_319:
	s_or_b64 exec, exec, s[2:3]
	v_readlane_b32 s2, v17, 6
	v_readlane_b32 s3, v17, 7
	s_and_b64 exec, exec, s[2:3]
	s_cbranch_execz .LBB8_321
; %bb.320:
	v_lshl_or_b32 v0, v2, 4, v1
	global_store_dword v0, v9, s[0:1]
.LBB8_321:
	s_endpgm
	.section	.rodata,"a",@progbits
	.p2align	6, 0x0
	.amdhsa_kernel _ZL18solve_tri_f32_fastILi64ELi4EEvPKfS1_Pf15HIP_vector_typeIjLj3EEmmmmmmii
		.amdhsa_group_segment_fixed_size 16384
		.amdhsa_private_segment_fixed_size 0
		.amdhsa_kernarg_size 352
		.amdhsa_user_sgpr_count 6
		.amdhsa_user_sgpr_private_segment_buffer 1
		.amdhsa_user_sgpr_dispatch_ptr 0
		.amdhsa_user_sgpr_queue_ptr 0
		.amdhsa_user_sgpr_kernarg_segment_ptr 1
		.amdhsa_user_sgpr_dispatch_id 0
		.amdhsa_user_sgpr_flat_scratch_init 0
		.amdhsa_user_sgpr_kernarg_preload_length 0
		.amdhsa_user_sgpr_kernarg_preload_offset 0
		.amdhsa_user_sgpr_private_segment_size 0
		.amdhsa_uses_dynamic_stack 0
		.amdhsa_system_sgpr_private_segment_wavefront_offset 0
		.amdhsa_system_sgpr_workgroup_id_x 1
		.amdhsa_system_sgpr_workgroup_id_y 0
		.amdhsa_system_sgpr_workgroup_id_z 0
		.amdhsa_system_sgpr_workgroup_info 0
		.amdhsa_system_vgpr_workitem_id 1
		.amdhsa_next_free_vgpr 18
		.amdhsa_next_free_sgpr 96
		.amdhsa_accum_offset 20
		.amdhsa_reserve_vcc 1
		.amdhsa_reserve_flat_scratch 0
		.amdhsa_float_round_mode_32 0
		.amdhsa_float_round_mode_16_64 0
		.amdhsa_float_denorm_mode_32 3
		.amdhsa_float_denorm_mode_16_64 3
		.amdhsa_dx10_clamp 1
		.amdhsa_ieee_mode 1
		.amdhsa_fp16_overflow 0
		.amdhsa_tg_split 0
		.amdhsa_exception_fp_ieee_invalid_op 0
		.amdhsa_exception_fp_denorm_src 0
		.amdhsa_exception_fp_ieee_div_zero 0
		.amdhsa_exception_fp_ieee_overflow 0
		.amdhsa_exception_fp_ieee_underflow 0
		.amdhsa_exception_fp_ieee_inexact 0
		.amdhsa_exception_int_div_zero 0
	.end_amdhsa_kernel
	.section	.text._ZL18solve_tri_f32_fastILi64ELi4EEvPKfS1_Pf15HIP_vector_typeIjLj3EEmmmmmmii,"axG",@progbits,_ZL18solve_tri_f32_fastILi64ELi4EEvPKfS1_Pf15HIP_vector_typeIjLj3EEmmmmmmii,comdat
.Lfunc_end8:
	.size	_ZL18solve_tri_f32_fastILi64ELi4EEvPKfS1_Pf15HIP_vector_typeIjLj3EEmmmmmmii, .Lfunc_end8-_ZL18solve_tri_f32_fastILi64ELi4EEvPKfS1_Pf15HIP_vector_typeIjLj3EEmmmmmmii
                                        ; -- End function
	.section	.AMDGPU.csdata,"",@progbits
; Kernel info:
; codeLenInByte = 17960
; NumSgprs: 100
; NumVgprs: 18
; NumAgprs: 0
; TotalNumVgprs: 18
; ScratchSize: 0
; MemoryBound: 0
; FloatMode: 240
; IeeeMode: 1
; LDSByteSize: 16384 bytes/workgroup (compile time only)
; SGPRBlocks: 12
; VGPRBlocks: 2
; NumSGPRsForWavesPerEU: 100
; NumVGPRsForWavesPerEU: 18
; AccumOffset: 20
; Occupancy: 8
; WaveLimiterHint : 0
; COMPUTE_PGM_RSRC2:SCRATCH_EN: 0
; COMPUTE_PGM_RSRC2:USER_SGPR: 6
; COMPUTE_PGM_RSRC2:TRAP_HANDLER: 0
; COMPUTE_PGM_RSRC2:TGID_X_EN: 1
; COMPUTE_PGM_RSRC2:TGID_Y_EN: 0
; COMPUTE_PGM_RSRC2:TGID_Z_EN: 0
; COMPUTE_PGM_RSRC2:TIDIG_COMP_CNT: 1
; COMPUTE_PGM_RSRC3_GFX90A:ACCUM_OFFSET: 4
; COMPUTE_PGM_RSRC3_GFX90A:TG_SPLIT: 0
	.section	.text._ZL18solve_tri_f32_fastILi64ELi2EEvPKfS1_Pf15HIP_vector_typeIjLj3EEmmmmmmii,"axG",@progbits,_ZL18solve_tri_f32_fastILi64ELi2EEvPKfS1_Pf15HIP_vector_typeIjLj3EEmmmmmmii,comdat
	.globl	_ZL18solve_tri_f32_fastILi64ELi2EEvPKfS1_Pf15HIP_vector_typeIjLj3EEmmmmmmii ; -- Begin function _ZL18solve_tri_f32_fastILi64ELi2EEvPKfS1_Pf15HIP_vector_typeIjLj3EEmmmmmmii
	.p2align	8
	.type	_ZL18solve_tri_f32_fastILi64ELi2EEvPKfS1_Pf15HIP_vector_typeIjLj3EEmmmmmmii,@function
_ZL18solve_tri_f32_fastILi64ELi2EEvPKfS1_Pf15HIP_vector_typeIjLj3EEmmmmmmii: ; @_ZL18solve_tri_f32_fastILi64ELi2EEvPKfS1_Pf15HIP_vector_typeIjLj3EEmmmmmmii
; %bb.0:
	v_bfe_u32 v1, v0, 10, 10
	v_cmp_gt_u32_e32 vcc, 2, v1
	s_and_saveexec_b64 s[0:1], vcc
	s_cbranch_execz .LBB9_385
; %bb.1:
	s_load_dwordx4 s[0:3], s[4:5], 0x18
	s_load_dwordx2 s[16:17], s[4:5], 0x0
	s_load_dwordx8 s[8:15], s[4:5], 0x28
	v_and_b32_e32 v0, 0x3ff, v0
	s_waitcnt lgkmcnt(0)
	s_mul_hi_u32 s0, s0, s6
	s_add_i32 s0, s6, s0
	s_lshr_b32 s33, s0, s1
	s_mul_i32 s0, s33, s2
	s_sub_i32 s44, s6, s0
	s_mul_i32 s0, s44, s9
	s_mul_hi_u32 s1, s44, s8
	s_add_i32 s1, s1, s0
	s_mul_i32 s0, s44, s8
	s_lshl_b64 s[0:1], s[0:1], 2
	s_add_u32 s2, s16, s0
	s_load_dword s6, s[4:5], 0x6c
	s_addc_u32 s3, s17, s1
	s_mul_i32 s0, s33, s11
	s_mul_hi_u32 s1, s33, s10
	s_add_i32 s1, s1, s0
	s_mul_i32 s0, s33, s10
	s_lshl_b64 s[0:1], s[0:1], 2
	s_add_u32 s0, s2, s0
	s_addc_u32 s1, s3, s1
	s_waitcnt lgkmcnt(0)
	s_and_b32 s2, s6, 0xffff
	v_mad_u32_u24 v3, v1, s2, v0
	s_movk_i32 s2, 0x1000
	v_cmp_gt_u32_e32 vcc, s2, v3
	v_lshlrev_b32_e32 v2, 2, v3
	s_and_saveexec_b64 s[2:3], vcc
	s_cbranch_execz .LBB9_3
; %bb.2:
	global_load_dword v4, v2, s[0:1]
	s_waitcnt vmcnt(0)
	ds_write_b32 v2, v4
.LBB9_3:
	s_or_b64 exec, exec, s[2:3]
	s_movk_i32 s2, 0xfc0
	v_cmp_gt_u32_e32 vcc, s2, v3
	s_and_saveexec_b64 s[2:3], vcc
	s_cbranch_execz .LBB9_5
; %bb.4:
	global_load_dword v4, v2, s[0:1] offset:256
	s_waitcnt vmcnt(0)
	ds_write_b32 v2, v4 offset:256
.LBB9_5:
	s_or_b64 exec, exec, s[2:3]
	s_movk_i32 s2, 0xf80
	v_cmp_gt_u32_e32 vcc, s2, v3
	s_and_saveexec_b64 s[2:3], vcc
	s_cbranch_execz .LBB9_7
; %bb.6:
	global_load_dword v4, v2, s[0:1] offset:512
	s_waitcnt vmcnt(0)
	ds_write_b32 v2, v4 offset:512
.LBB9_7:
	;; [unrolled: 10-line block ×15, first 2 shown]
	s_or_b64 exec, exec, s[2:3]
	s_movk_i32 s2, 0xc00
	v_cmp_gt_u32_e32 vcc, s2, v3
	s_and_saveexec_b64 s[2:3], vcc
	s_cbranch_execz .LBB9_35
; %bb.34:
	v_add_u32_e32 v4, 0x1000, v2
	global_load_dword v4, v4, s[0:1]
	s_waitcnt vmcnt(0)
	ds_write_b32 v2, v4 offset:4096
.LBB9_35:
	s_or_b64 exec, exec, s[2:3]
	s_movk_i32 s2, 0xbc0
	v_cmp_gt_u32_e32 vcc, s2, v3
	s_and_saveexec_b64 s[2:3], vcc
	s_cbranch_execz .LBB9_37
; %bb.36:
	v_add_u32_e32 v4, 0x1100, v2
	global_load_dword v4, v4, s[0:1]
	s_waitcnt vmcnt(0)
	ds_write_b32 v2, v4 offset:4352
.LBB9_37:
	;; [unrolled: 11-line block ×16, first 2 shown]
	s_or_b64 exec, exec, s[2:3]
	s_movk_i32 s2, 0x800
	v_cmp_gt_u32_e32 vcc, s2, v3
	s_and_saveexec_b64 s[2:3], vcc
	s_cbranch_execz .LBB9_67
; %bb.66:
	v_or_b32_e32 v4, 0x2000, v2
	global_load_dword v4, v4, s[0:1]
	s_waitcnt vmcnt(0)
	ds_write_b32 v2, v4 offset:8192
.LBB9_67:
	s_or_b64 exec, exec, s[2:3]
	s_movk_i32 s2, 0x7c0
	v_cmp_gt_u32_e32 vcc, s2, v3
	s_and_saveexec_b64 s[2:3], vcc
	s_cbranch_execz .LBB9_69
; %bb.68:
	v_add_u32_e32 v4, 0x2100, v2
	global_load_dword v4, v4, s[0:1]
	s_waitcnt vmcnt(0)
	ds_write_b32 v2, v4 offset:8448
.LBB9_69:
	s_or_b64 exec, exec, s[2:3]
	s_movk_i32 s2, 0x780
	v_cmp_gt_u32_e32 vcc, s2, v3
	s_and_saveexec_b64 s[2:3], vcc
	s_cbranch_execz .LBB9_71
; %bb.70:
	v_add_u32_e32 v4, 0x2200, v2
	global_load_dword v4, v4, s[0:1]
	s_waitcnt vmcnt(0)
	ds_write_b32 v2, v4 offset:8704
.LBB9_71:
	;; [unrolled: 11-line block ×15, first 2 shown]
	s_or_b64 exec, exec, s[2:3]
	s_movk_i32 s2, 0x400
	v_cmp_gt_u32_e32 vcc, s2, v3
	s_and_saveexec_b64 s[2:3], vcc
	s_cbranch_execz .LBB9_99
; %bb.98:
	v_or_b32_e32 v4, 0x3000, v2
	global_load_dword v4, v4, s[0:1]
	s_waitcnt vmcnt(0)
	ds_write_b32 v2, v4 offset:12288
.LBB9_99:
	s_or_b64 exec, exec, s[2:3]
	s_movk_i32 s2, 0x3c0
	v_cmp_gt_u32_e32 vcc, s2, v3
	s_and_saveexec_b64 s[2:3], vcc
	s_cbranch_execz .LBB9_101
; %bb.100:
	v_add_u32_e32 v4, 0x3100, v2
	global_load_dword v4, v4, s[0:1]
	s_waitcnt vmcnt(0)
	ds_write_b32 v2, v4 offset:12544
.LBB9_101:
	s_or_b64 exec, exec, s[2:3]
	s_movk_i32 s2, 0x380
	v_cmp_gt_u32_e32 vcc, s2, v3
	s_and_saveexec_b64 s[2:3], vcc
	s_cbranch_execz .LBB9_103
; %bb.102:
	v_add_u32_e32 v4, 0x3200, v2
	global_load_dword v4, v4, s[0:1]
	s_waitcnt vmcnt(0)
	ds_write_b32 v2, v4 offset:12800
.LBB9_103:
	;; [unrolled: 11-line block ×7, first 2 shown]
	s_or_b64 exec, exec, s[2:3]
	s_movk_i32 s2, 0x200
	v_cmp_gt_u32_e32 vcc, s2, v3
	s_and_saveexec_b64 s[2:3], vcc
	s_cbranch_execz .LBB9_115
; %bb.114:
	v_or_b32_e32 v4, 0x3800, v2
	global_load_dword v4, v4, s[0:1]
	s_waitcnt vmcnt(0)
	ds_write_b32 v2, v4 offset:14336
.LBB9_115:
	s_or_b64 exec, exec, s[2:3]
	s_movk_i32 s2, 0x1c0
	v_cmp_gt_u32_e32 vcc, s2, v3
	s_and_saveexec_b64 s[2:3], vcc
	s_cbranch_execz .LBB9_117
; %bb.116:
	v_add_u32_e32 v4, 0x3900, v2
	global_load_dword v4, v4, s[0:1]
	s_waitcnt vmcnt(0)
	ds_write_b32 v2, v4 offset:14592
.LBB9_117:
	s_or_b64 exec, exec, s[2:3]
	s_movk_i32 s2, 0x180
	v_cmp_gt_u32_e32 vcc, s2, v3
	s_and_saveexec_b64 s[2:3], vcc
	s_cbranch_execz .LBB9_119
; %bb.118:
	v_add_u32_e32 v4, 0x3a00, v2
	global_load_dword v4, v4, s[0:1]
	s_waitcnt vmcnt(0)
	ds_write_b32 v2, v4 offset:14848
.LBB9_119:
	;; [unrolled: 11-line block ×3, first 2 shown]
	s_or_b64 exec, exec, s[2:3]
	s_movk_i32 s2, 0x100
	v_cmp_gt_u32_e32 vcc, s2, v3
	s_and_saveexec_b64 s[2:3], vcc
	s_cbranch_execz .LBB9_123
; %bb.122:
	v_or_b32_e32 v4, 0x3c00, v2
	global_load_dword v4, v4, s[0:1]
	s_waitcnt vmcnt(0)
	ds_write_b32 v2, v4 offset:15360
.LBB9_123:
	s_or_b64 exec, exec, s[2:3]
	s_load_dwordx4 s[8:11], s[4:5], 0x48
                                        ; implicit-def: $vgpr17 : SGPR spill to VGPR lane
	s_movk_i32 s2, 0xc0
	v_cmp_gt_u32_e32 vcc, s2, v3
	s_waitcnt lgkmcnt(0)
	v_writelane_b32 v17, s8, 0
	v_writelane_b32 v17, s9, 1
	;; [unrolled: 1-line block ×4, first 2 shown]
	s_and_saveexec_b64 s[2:3], vcc
	s_cbranch_execz .LBB9_125
; %bb.124:
	v_add_u32_e32 v4, 0x3d00, v2
	global_load_dword v4, v4, s[0:1]
	s_waitcnt vmcnt(0)
	ds_write_b32 v2, v4 offset:15616
.LBB9_125:
	s_or_b64 exec, exec, s[2:3]
	s_load_dwordx2 s[2:3], s[4:5], 0x8
	s_movk_i32 s6, 0x80
	v_cmp_gt_u32_e32 vcc, s6, v3
	s_and_saveexec_b64 s[6:7], vcc
	s_cbranch_execz .LBB9_127
; %bb.126:
	v_or_b32_e32 v4, 0x3e00, v2
	global_load_dword v4, v4, s[0:1]
	s_waitcnt vmcnt(0)
	ds_write_b32 v2, v4 offset:15872
.LBB9_127:
	s_or_b64 exec, exec, s[6:7]
	v_cmp_gt_u32_e32 vcc, 64, v3
	s_and_saveexec_b64 s[6:7], vcc
	s_cbranch_execz .LBB9_129
; %bb.128:
	v_or_b32_e32 v3, 0x3f00, v2
	global_load_dword v3, v3, s[0:1]
	s_waitcnt vmcnt(0)
	ds_write_b32 v2, v3 offset:16128
.LBB9_129:
	s_or_b64 exec, exec, s[6:7]
	s_mul_i32 s0, s44, s13
	s_mul_hi_u32 s1, s44, s12
	s_add_i32 s1, s1, s0
	s_mul_i32 s0, s44, s12
	s_mul_i32 s6, s33, s15
	s_mul_hi_u32 s7, s33, s14
	s_add_i32 s7, s7, s6
	s_lshl_b64 s[0:1], s[0:1], 2
	s_mul_i32 s6, s33, s14
	s_waitcnt lgkmcnt(0)
	s_add_u32 s2, s2, s0
	s_addc_u32 s3, s3, s1
	s_lshl_b64 s[0:1], s[6:7], 2
	s_add_u32 s0, s2, s0
	s_addc_u32 s1, s3, s1
	v_mov_b32_e32 v9, 0
	v_lshlrev_b32_e32 v1, 2, v1
	v_mov_b32_e32 v10, 0
	s_barrier
	v_cmp_gt_u32_e64 s[6:7], 64, v0
	s_mov_b64 s[2:3], exec
	v_writelane_b32 v17, s6, 4
	v_writelane_b32 v17, s7, 5
	s_and_b64 s[6:7], s[2:3], s[6:7]
	s_mov_b64 exec, s[6:7]
	s_cbranch_execz .LBB9_131
; %bb.130:
	v_lshl_or_b32 v2, v0, 3, v1
	global_load_dword v10, v2, s[0:1]
.LBB9_131:
	s_or_b64 exec, exec, s[2:3]
	v_add_u32_e32 v2, 32, v0
	v_cmp_gt_u32_e64 s[6:7], 32, v0
	s_mov_b64 s[2:3], exec
	v_writelane_b32 v17, s6, 6
	v_writelane_b32 v17, s7, 7
	s_and_b64 s[6:7], s[2:3], s[6:7]
	s_mov_b64 exec, s[6:7]
	s_cbranch_execz .LBB9_133
; %bb.132:
	v_lshl_or_b32 v3, v2, 3, v1
	global_load_dword v9, v3, s[0:1]
.LBB9_133:
	s_or_b64 exec, exec, s[2:3]
	v_mbcnt_lo_u32_b32 v3, -1, 0
	v_mbcnt_hi_u32_b32 v7, -1, v3
	v_and_b32_e32 v3, 0x60, v7
	v_add_u32_e32 v11, 32, v3
	v_xor_b32_e32 v3, 16, v7
	v_cmp_lt_i32_e32 vcc, v3, v11
	v_cndmask_b32_e32 v3, v7, v3, vcc
	v_mov_b32_e32 v8, 0
	v_lshlrev_b32_e32 v3, 2, v3
	ds_bpermute_b32 v5, v3, v8
	v_xor_b32_e32 v4, 8, v7
	v_cmp_lt_i32_e32 vcc, v4, v11
	v_cndmask_b32_e32 v4, v7, v4, vcc
	v_lshlrev_b32_e32 v4, 2, v4
	s_waitcnt lgkmcnt(0)
	v_add_f32_e32 v6, 0, v5
	ds_bpermute_b32 v12, v4, v6
	v_xor_b32_e32 v5, 4, v7
	v_cmp_lt_i32_e32 vcc, v5, v11
	v_cndmask_b32_e32 v5, v7, v5, vcc
	v_lshlrev_b32_e32 v5, 2, v5
	s_waitcnt lgkmcnt(0)
	v_add_f32_e32 v12, v6, v12
	;; [unrolled: 7-line block ×4, first 2 shown]
	ds_bpermute_b32 v12, v7, v11
	v_cmp_eq_u32_e64 s[6:7], 0, v0
	s_and_saveexec_b64 s[0:1], s[6:7]
	s_cbranch_execz .LBB9_135
; %bb.134:
	ds_read_b32 v13, v8
	s_waitcnt lgkmcnt(1)
	v_add_f32_e32 v11, v11, v12
	s_waitcnt vmcnt(0)
	v_sub_f32_e32 v10, v10, v11
	s_waitcnt lgkmcnt(0)
	v_div_scale_f32 v11, s[2:3], v13, v13, v10
	v_rcp_f32_e32 v12, v11
	v_div_scale_f32 v14, vcc, v10, v13, v10
	v_fma_f32 v15, -v11, v12, 1.0
	v_fmac_f32_e32 v12, v15, v12
	v_mul_f32_e32 v15, v14, v12
	v_fma_f32 v16, -v11, v15, v14
	v_fmac_f32_e32 v15, v16, v12
	v_fma_f32 v11, -v11, v15, v14
	v_div_fmas_f32 v11, v11, v12, v15
	v_div_fixup_f32 v10, v11, v13, v10
.LBB9_135:
	s_or_b64 exec, exec, s[0:1]
	ds_read_b32 v8, v8 offset:256
	v_cmp_eq_u32_e64 s[2:3], 1, v0
	s_waitcnt vmcnt(0) lgkmcnt(0)
	v_fma_f32 v8, v10, v8, 0
	v_cndmask_b32_e64 v8, 0, v8, s[6:7]
	ds_bpermute_b32 v11, v3, v8
	s_waitcnt lgkmcnt(0)
	v_add_f32_e32 v8, v8, v11
	ds_bpermute_b32 v11, v4, v8
	s_waitcnt lgkmcnt(0)
	v_add_f32_e32 v8, v8, v11
	;; [unrolled: 3-line block ×4, first 2 shown]
	ds_bpermute_b32 v11, v7, v8
	s_mov_b64 s[0:1], exec
	v_writelane_b32 v17, s2, 8
	v_writelane_b32 v17, s3, 9
	s_and_b64 s[2:3], s[0:1], s[2:3]
	s_mov_b64 exec, s[2:3]
	s_cbranch_execz .LBB9_137
; %bb.136:
	v_mov_b32_e32 v12, 0
	ds_read_b32 v12, v12 offset:260
	s_waitcnt lgkmcnt(1)
	v_add_f32_e32 v8, v8, v11
	v_sub_f32_e32 v8, v10, v8
	s_waitcnt lgkmcnt(0)
	v_div_scale_f32 v10, s[2:3], v12, v12, v8
	v_rcp_f32_e32 v11, v10
	v_div_scale_f32 v13, vcc, v8, v12, v8
	v_fma_f32 v14, -v10, v11, 1.0
	v_fmac_f32_e32 v11, v14, v11
	v_mul_f32_e32 v14, v13, v11
	v_fma_f32 v15, -v10, v14, v13
	v_fmac_f32_e32 v14, v15, v11
	v_fma_f32 v10, -v10, v14, v13
	v_div_fmas_f32 v10, v10, v11, v14
	v_div_fixup_f32 v10, v10, v12, v8
.LBB9_137:
	s_or_b64 exec, exec, s[0:1]
	s_waitcnt lgkmcnt(0)
	v_mov_b32_e32 v11, 0
	v_lshlrev_b32_e32 v8, 2, v0
	v_cmp_gt_u32_e64 s[2:3], 2, v0
	s_mov_b64 s[0:1], exec
	v_writelane_b32 v17, s2, 10
	v_writelane_b32 v17, s3, 11
	s_and_b64 s[2:3], s[0:1], s[2:3]
	s_mov_b64 exec, s[2:3]
	s_cbranch_execz .LBB9_139
; %bb.138:
	ds_read_b32 v11, v8 offset:512
	s_waitcnt lgkmcnt(0)
	v_fma_f32 v11, v10, v11, 0
.LBB9_139:
	s_or_b64 exec, exec, s[0:1]
	ds_bpermute_b32 v12, v3, v11
	v_cmp_eq_u32_e64 s[74:75], 2, v0
	s_waitcnt lgkmcnt(0)
	v_add_f32_e32 v11, v11, v12
	ds_bpermute_b32 v12, v4, v11
	s_waitcnt lgkmcnt(0)
	v_add_f32_e32 v11, v11, v12
	ds_bpermute_b32 v12, v5, v11
	s_waitcnt lgkmcnt(0)
	v_add_f32_e32 v11, v11, v12
	ds_bpermute_b32 v12, v6, v11
	s_waitcnt lgkmcnt(0)
	v_add_f32_e32 v11, v11, v12
	ds_bpermute_b32 v12, v7, v11
	s_and_saveexec_b64 s[0:1], s[74:75]
	s_cbranch_execz .LBB9_141
; %bb.140:
	v_mov_b32_e32 v13, 0
	ds_read_b32 v13, v13 offset:520
	s_waitcnt lgkmcnt(1)
	v_add_f32_e32 v11, v11, v12
	v_sub_f32_e32 v10, v10, v11
	s_waitcnt lgkmcnt(0)
	v_div_scale_f32 v11, s[2:3], v13, v13, v10
	v_rcp_f32_e32 v12, v11
	v_div_scale_f32 v14, vcc, v10, v13, v10
	v_fma_f32 v15, -v11, v12, 1.0
	v_fmac_f32_e32 v12, v15, v12
	v_mul_f32_e32 v15, v14, v12
	v_fma_f32 v16, -v11, v15, v14
	v_fmac_f32_e32 v15, v16, v12
	v_fma_f32 v11, -v11, v15, v14
	v_div_fmas_f32 v11, v11, v12, v15
	v_div_fixup_f32 v10, v11, v13, v10
.LBB9_141:
	s_or_b64 exec, exec, s[0:1]
	v_mov_b32_e32 v11, 0
	v_cmp_gt_u32_e64 s[2:3], 3, v0
	s_mov_b64 s[0:1], exec
	v_writelane_b32 v17, s2, 12
	v_writelane_b32 v17, s3, 13
	s_and_b64 s[2:3], s[0:1], s[2:3]
	s_mov_b64 exec, s[2:3]
	s_cbranch_execz .LBB9_143
; %bb.142:
	ds_read_b32 v11, v8 offset:768
	s_waitcnt lgkmcnt(0)
	v_fma_f32 v11, v10, v11, 0
.LBB9_143:
	s_or_b64 exec, exec, s[0:1]
	s_waitcnt lgkmcnt(0)
	ds_bpermute_b32 v12, v3, v11
	v_cmp_eq_u32_e64 s[76:77], 3, v0
	s_waitcnt lgkmcnt(0)
	v_add_f32_e32 v11, v11, v12
	ds_bpermute_b32 v12, v4, v11
	s_waitcnt lgkmcnt(0)
	v_add_f32_e32 v11, v11, v12
	ds_bpermute_b32 v12, v5, v11
	s_waitcnt lgkmcnt(0)
	v_add_f32_e32 v11, v11, v12
	ds_bpermute_b32 v12, v6, v11
	s_waitcnt lgkmcnt(0)
	v_add_f32_e32 v11, v11, v12
	ds_bpermute_b32 v12, v7, v11
	s_and_saveexec_b64 s[0:1], s[76:77]
	s_cbranch_execz .LBB9_145
; %bb.144:
	v_mov_b32_e32 v13, 0
	ds_read_b32 v13, v13 offset:780
	s_waitcnt lgkmcnt(1)
	v_add_f32_e32 v11, v11, v12
	v_sub_f32_e32 v10, v10, v11
	s_waitcnt lgkmcnt(0)
	v_div_scale_f32 v11, s[2:3], v13, v13, v10
	v_rcp_f32_e32 v12, v11
	v_div_scale_f32 v14, vcc, v10, v13, v10
	v_fma_f32 v15, -v11, v12, 1.0
	v_fmac_f32_e32 v12, v15, v12
	v_mul_f32_e32 v15, v14, v12
	v_fma_f32 v16, -v11, v15, v14
	v_fmac_f32_e32 v15, v16, v12
	v_fma_f32 v11, -v11, v15, v14
	v_div_fmas_f32 v11, v11, v12, v15
	v_div_fixup_f32 v10, v11, v13, v10
.LBB9_145:
	s_or_b64 exec, exec, s[0:1]
	v_mov_b32_e32 v11, 0
	v_cmp_gt_u32_e64 s[2:3], 4, v0
	s_mov_b64 s[0:1], exec
	v_writelane_b32 v17, s2, 14
	v_writelane_b32 v17, s3, 15
	s_and_b64 s[2:3], s[0:1], s[2:3]
	s_mov_b64 exec, s[2:3]
	s_cbranch_execz .LBB9_147
; %bb.146:
	ds_read_b32 v11, v8 offset:1024
	s_waitcnt lgkmcnt(0)
	v_fma_f32 v11, v10, v11, 0
.LBB9_147:
	s_or_b64 exec, exec, s[0:1]
	s_waitcnt lgkmcnt(0)
	;; [unrolled: 51-line block ×14, first 2 shown]
	ds_bpermute_b32 v12, v3, v11
	v_cmp_eq_u32_e64 s[10:11], 16, v0
	s_waitcnt lgkmcnt(0)
	v_add_f32_e32 v11, v11, v12
	ds_bpermute_b32 v12, v4, v11
	s_waitcnt lgkmcnt(0)
	v_add_f32_e32 v11, v11, v12
	ds_bpermute_b32 v12, v5, v11
	s_waitcnt lgkmcnt(0)
	v_add_f32_e32 v11, v11, v12
	ds_bpermute_b32 v12, v6, v11
	s_waitcnt lgkmcnt(0)
	v_add_f32_e32 v11, v11, v12
	ds_bpermute_b32 v12, v7, v11
	s_and_saveexec_b64 s[12:13], s[10:11]
	s_cbranch_execz .LBB9_197
; %bb.196:
	v_mov_b32_e32 v13, 0
	ds_read_b32 v13, v13 offset:4160
	s_waitcnt lgkmcnt(1)
	v_add_f32_e32 v11, v11, v12
	v_sub_f32_e32 v10, v10, v11
	s_waitcnt lgkmcnt(0)
	v_div_scale_f32 v11, s[14:15], v13, v13, v10
	v_rcp_f32_e32 v12, v11
	v_div_scale_f32 v14, vcc, v10, v13, v10
	v_fma_f32 v15, -v11, v12, 1.0
	v_fmac_f32_e32 v12, v15, v12
	v_mul_f32_e32 v15, v14, v12
	v_fma_f32 v16, -v11, v15, v14
	v_fmac_f32_e32 v15, v16, v12
	v_fma_f32 v11, -v11, v15, v14
	v_div_fmas_f32 v11, v11, v12, v15
	v_div_fixup_f32 v10, v11, v13, v10
.LBB9_197:
	s_or_b64 exec, exec, s[12:13]
	v_cmp_gt_u32_e64 s[46:47], 17, v0
	v_mov_b32_e32 v11, 0
	s_and_saveexec_b64 s[12:13], s[46:47]
	s_cbranch_execz .LBB9_199
; %bb.198:
	ds_read_b32 v11, v8 offset:4352
	s_waitcnt lgkmcnt(0)
	v_fma_f32 v11, v10, v11, 0
.LBB9_199:
	s_or_b64 exec, exec, s[12:13]
	s_waitcnt lgkmcnt(0)
	ds_bpermute_b32 v12, v3, v11
	v_cmp_eq_u32_e64 s[12:13], 17, v0
	s_waitcnt lgkmcnt(0)
	v_add_f32_e32 v11, v11, v12
	ds_bpermute_b32 v12, v4, v11
	s_waitcnt lgkmcnt(0)
	v_add_f32_e32 v11, v11, v12
	ds_bpermute_b32 v12, v5, v11
	s_waitcnt lgkmcnt(0)
	v_add_f32_e32 v11, v11, v12
	ds_bpermute_b32 v12, v6, v11
	s_waitcnt lgkmcnt(0)
	v_add_f32_e32 v11, v11, v12
	ds_bpermute_b32 v12, v7, v11
	s_and_saveexec_b64 s[14:15], s[12:13]
	s_cbranch_execz .LBB9_201
; %bb.200:
	v_mov_b32_e32 v13, 0
	ds_read_b32 v13, v13 offset:4420
	s_waitcnt lgkmcnt(1)
	v_add_f32_e32 v11, v11, v12
	v_sub_f32_e32 v10, v10, v11
	s_waitcnt lgkmcnt(0)
	v_div_scale_f32 v11, s[16:17], v13, v13, v10
	v_rcp_f32_e32 v12, v11
	v_div_scale_f32 v14, vcc, v10, v13, v10
	v_fma_f32 v15, -v11, v12, 1.0
	v_fmac_f32_e32 v12, v15, v12
	v_mul_f32_e32 v15, v14, v12
	v_fma_f32 v16, -v11, v15, v14
	v_fmac_f32_e32 v15, v16, v12
	v_fma_f32 v11, -v11, v15, v14
	v_div_fmas_f32 v11, v11, v12, v15
	v_div_fixup_f32 v10, v11, v13, v10
.LBB9_201:
	s_or_b64 exec, exec, s[14:15]
	v_cmp_gt_u32_e64 s[48:49], 18, v0
	v_mov_b32_e32 v11, 0
	s_and_saveexec_b64 s[14:15], s[48:49]
	s_cbranch_execz .LBB9_203
; %bb.202:
	ds_read_b32 v11, v8 offset:4608
	s_waitcnt lgkmcnt(0)
	v_fma_f32 v11, v10, v11, 0
.LBB9_203:
	s_or_b64 exec, exec, s[14:15]
	s_waitcnt lgkmcnt(0)
	;; [unrolled: 47-line block ×14, first 2 shown]
	ds_bpermute_b32 v12, v3, v11
	v_cmp_eq_u32_e64 s[40:41], 30, v0
	s_waitcnt lgkmcnt(0)
	v_add_f32_e32 v11, v11, v12
	ds_bpermute_b32 v12, v4, v11
	s_waitcnt lgkmcnt(0)
	v_add_f32_e32 v11, v11, v12
	ds_bpermute_b32 v12, v5, v11
	;; [unrolled: 3-line block ×4, first 2 shown]
	s_and_saveexec_b64 s[42:43], s[40:41]
	s_cbranch_execz .LBB9_253
; %bb.252:
	v_mov_b32_e32 v13, 0
	ds_read_b32 v13, v13 offset:7800
	s_waitcnt lgkmcnt(1)
	v_add_f32_e32 v11, v11, v12
	v_sub_f32_e32 v10, v10, v11
	s_waitcnt lgkmcnt(0)
	v_div_scale_f32 v11, vcc, v13, v13, v10
	v_rcp_f32_e32 v12, v11
	v_div_scale_f32 v14, vcc, v10, v13, v10
	v_fma_f32 v15, -v11, v12, 1.0
	v_fmac_f32_e32 v12, v15, v12
	v_mul_f32_e32 v15, v14, v12
	v_fma_f32 v16, -v11, v15, v14
	v_fmac_f32_e32 v15, v16, v12
	v_fma_f32 v11, -v11, v15, v14
	v_div_fmas_f32 v11, v11, v12, v15
	v_div_fixup_f32 v10, v11, v13, v10
.LBB9_253:
	s_or_b64 exec, exec, s[42:43]
	v_mov_b32_e32 v11, 0
	v_cmp_gt_u32_e32 vcc, 31, v0
	s_mov_b64 s[42:43], exec
	v_writelane_b32 v17, vcc_lo, 40
	v_writelane_b32 v17, vcc_hi, 41
	s_and_b64 vcc, s[42:43], vcc
	s_mov_b64 exec, vcc
	s_cbranch_execz .LBB9_255
; %bb.254:
	ds_read_b32 v11, v8 offset:7936
	s_waitcnt lgkmcnt(0)
	v_fma_f32 v11, v10, v11, 0
.LBB9_255:
	s_or_b64 exec, exec, s[42:43]
	s_waitcnt lgkmcnt(0)
	ds_bpermute_b32 v12, v3, v11
	v_cmp_eq_u32_e32 vcc, 31, v0
	s_waitcnt lgkmcnt(0)
	v_add_f32_e32 v11, v11, v12
	ds_bpermute_b32 v12, v4, v11
	s_waitcnt lgkmcnt(0)
	v_add_f32_e32 v11, v11, v12
	ds_bpermute_b32 v12, v5, v11
	;; [unrolled: 3-line block ×4, first 2 shown]
	s_mov_b64 s[42:43], exec
	v_writelane_b32 v17, vcc_lo, 42
	v_writelane_b32 v17, vcc_hi, 43
	s_and_b64 vcc, s[42:43], vcc
	s_mov_b64 exec, vcc
	s_cbranch_execz .LBB9_257
; %bb.256:
	v_mov_b32_e32 v13, 0
	ds_read_b32 v13, v13 offset:8060
	s_waitcnt lgkmcnt(1)
	v_add_f32_e32 v11, v11, v12
	v_sub_f32_e32 v10, v10, v11
	s_waitcnt lgkmcnt(0)
	v_div_scale_f32 v11, vcc, v13, v13, v10
	v_rcp_f32_e32 v12, v11
	v_div_scale_f32 v14, vcc, v10, v13, v10
	v_fma_f32 v15, -v11, v12, 1.0
	v_fmac_f32_e32 v12, v15, v12
	v_mul_f32_e32 v15, v14, v12
	v_fma_f32 v16, -v11, v15, v14
	v_fmac_f32_e32 v15, v16, v12
	v_fma_f32 v11, -v11, v15, v14
	v_div_fmas_f32 v11, v11, v12, v15
	v_div_fixup_f32 v10, v11, v13, v10
.LBB9_257:
	s_or_b64 exec, exec, s[42:43]
	ds_read_b32 v11, v8 offset:8192
	s_waitcnt lgkmcnt(0)
	v_mul_f32_e32 v12, v10, v11
	ds_bpermute_b32 v12, v3, v12
	s_waitcnt lgkmcnt(0)
	v_fmac_f32_e32 v12, v10, v11
	ds_bpermute_b32 v11, v4, v12
	s_waitcnt lgkmcnt(0)
	v_add_f32_e32 v11, v12, v11
	ds_bpermute_b32 v12, v5, v11
	s_waitcnt lgkmcnt(0)
	v_add_f32_e32 v11, v11, v12
	;; [unrolled: 3-line block ×3, first 2 shown]
	ds_bpermute_b32 v12, v7, v11
	s_and_saveexec_b64 s[42:43], s[6:7]
	s_cbranch_execz .LBB9_259
; %bb.258:
	v_mov_b32_e32 v13, 0
	ds_read_b32 v13, v13 offset:8320
	s_waitcnt lgkmcnt(1)
	v_add_f32_e32 v11, v11, v12
	v_sub_f32_e32 v9, v9, v11
	s_waitcnt lgkmcnt(0)
	v_div_scale_f32 v11, vcc, v13, v13, v9
	v_rcp_f32_e32 v12, v11
	v_div_scale_f32 v14, vcc, v9, v13, v9
	v_fma_f32 v15, -v11, v12, 1.0
	v_fmac_f32_e32 v12, v15, v12
	v_mul_f32_e32 v15, v14, v12
	v_fma_f32 v16, -v11, v15, v14
	v_fmac_f32_e32 v15, v16, v12
	v_fma_f32 v11, -v11, v15, v14
	v_div_fmas_f32 v11, v11, v12, v15
	v_div_fixup_f32 v9, v11, v13, v9
.LBB9_259:
	s_or_b64 exec, exec, s[42:43]
	v_mov_b32_e32 v11, 0
	s_waitcnt lgkmcnt(0)
	ds_read_b32 v12, v8 offset:8448
	ds_read_b32 v13, v11 offset:8576
	s_waitcnt lgkmcnt(1)
	v_mul_f32_e32 v12, v10, v12
	s_waitcnt lgkmcnt(0)
	v_fma_f32 v13, v9, v13, v12
	v_cndmask_b32_e64 v12, v12, v13, s[6:7]
	ds_bpermute_b32 v13, v3, v12
	s_waitcnt lgkmcnt(0)
	v_add_f32_e32 v12, v12, v13
	ds_bpermute_b32 v13, v4, v12
	s_waitcnt lgkmcnt(0)
	v_add_f32_e32 v12, v12, v13
	;; [unrolled: 3-line block ×4, first 2 shown]
	ds_bpermute_b32 v13, v7, v12
	s_mov_b64 s[6:7], exec
	v_readlane_b32 s42, v17, 8
	v_readlane_b32 s43, v17, 9
	s_and_b64 s[42:43], s[6:7], s[42:43]
	s_mov_b64 exec, s[42:43]
	s_cbranch_execz .LBB9_261
; %bb.260:
	ds_read_b32 v11, v11 offset:8580
	s_waitcnt lgkmcnt(1)
	v_add_f32_e32 v12, v12, v13
	v_sub_f32_e32 v9, v9, v12
	s_waitcnt lgkmcnt(0)
	v_div_scale_f32 v12, s[42:43], v11, v11, v9
	v_rcp_f32_e32 v13, v12
	v_div_scale_f32 v14, vcc, v9, v11, v9
	v_fma_f32 v15, -v12, v13, 1.0
	v_fmac_f32_e32 v13, v15, v13
	v_mul_f32_e32 v15, v14, v13
	v_fma_f32 v16, -v12, v15, v14
	v_fmac_f32_e32 v15, v16, v13
	v_fma_f32 v12, -v12, v15, v14
	v_div_fmas_f32 v12, v12, v13, v15
	v_div_fixup_f32 v9, v12, v11, v9
.LBB9_261:
	s_or_b64 exec, exec, s[6:7]
	ds_read_b32 v11, v8 offset:8704
	s_waitcnt lgkmcnt(0)
	v_mul_f32_e32 v11, v10, v11
	s_mov_b64 s[6:7], exec
	v_readlane_b32 s42, v17, 10
	v_readlane_b32 s43, v17, 11
	s_and_b64 s[42:43], s[6:7], s[42:43]
	s_mov_b64 exec, s[42:43]
	s_cbranch_execz .LBB9_263
; %bb.262:
	ds_read_b32 v12, v8 offset:8832
	s_waitcnt lgkmcnt(0)
	v_fmac_f32_e32 v11, v9, v12
.LBB9_263:
	s_or_b64 exec, exec, s[6:7]
	ds_bpermute_b32 v12, v3, v11
	s_waitcnt lgkmcnt(0)
	v_add_f32_e32 v11, v11, v12
	ds_bpermute_b32 v12, v4, v11
	s_waitcnt lgkmcnt(0)
	v_add_f32_e32 v11, v11, v12
	ds_bpermute_b32 v12, v5, v11
	s_waitcnt lgkmcnt(0)
	v_add_f32_e32 v11, v11, v12
	ds_bpermute_b32 v12, v6, v11
	s_waitcnt lgkmcnt(0)
	v_add_f32_e32 v11, v11, v12
	ds_bpermute_b32 v12, v7, v11
	s_and_saveexec_b64 s[6:7], s[74:75]
	s_cbranch_execz .LBB9_265
; %bb.264:
	v_mov_b32_e32 v13, 0
	ds_read_b32 v13, v13 offset:8840
	s_waitcnt lgkmcnt(1)
	v_add_f32_e32 v11, v11, v12
	v_sub_f32_e32 v9, v9, v11
	s_waitcnt lgkmcnt(0)
	v_div_scale_f32 v11, s[42:43], v13, v13, v9
	v_rcp_f32_e32 v12, v11
	v_div_scale_f32 v14, vcc, v9, v13, v9
	v_fma_f32 v15, -v11, v12, 1.0
	v_fmac_f32_e32 v12, v15, v12
	v_mul_f32_e32 v15, v14, v12
	v_fma_f32 v16, -v11, v15, v14
	v_fmac_f32_e32 v15, v16, v12
	v_fma_f32 v11, -v11, v15, v14
	v_div_fmas_f32 v11, v11, v12, v15
	v_div_fixup_f32 v9, v11, v13, v9
.LBB9_265:
	s_or_b64 exec, exec, s[6:7]
	ds_read_b32 v11, v8 offset:8960
	s_waitcnt lgkmcnt(0)
	v_mul_f32_e32 v11, v10, v11
	s_mov_b64 s[6:7], exec
	v_readlane_b32 s42, v17, 12
	v_readlane_b32 s43, v17, 13
	s_and_b64 s[42:43], s[6:7], s[42:43]
	s_mov_b64 exec, s[42:43]
	s_cbranch_execz .LBB9_267
; %bb.266:
	ds_read_b32 v12, v8 offset:9088
	s_waitcnt lgkmcnt(0)
	v_fmac_f32_e32 v11, v9, v12
.LBB9_267:
	s_or_b64 exec, exec, s[6:7]
	ds_bpermute_b32 v12, v3, v11
	s_waitcnt lgkmcnt(0)
	v_add_f32_e32 v11, v11, v12
	ds_bpermute_b32 v12, v4, v11
	s_waitcnt lgkmcnt(0)
	v_add_f32_e32 v11, v11, v12
	ds_bpermute_b32 v12, v5, v11
	s_waitcnt lgkmcnt(0)
	v_add_f32_e32 v11, v11, v12
	ds_bpermute_b32 v12, v6, v11
	s_waitcnt lgkmcnt(0)
	v_add_f32_e32 v11, v11, v12
	ds_bpermute_b32 v12, v7, v11
	s_and_saveexec_b64 s[6:7], s[76:77]
	s_cbranch_execz .LBB9_269
; %bb.268:
	v_mov_b32_e32 v13, 0
	ds_read_b32 v13, v13 offset:9100
	s_waitcnt lgkmcnt(1)
	v_add_f32_e32 v11, v11, v12
	v_sub_f32_e32 v9, v9, v11
	s_waitcnt lgkmcnt(0)
	v_div_scale_f32 v11, s[42:43], v13, v13, v9
	v_rcp_f32_e32 v12, v11
	v_div_scale_f32 v14, vcc, v9, v13, v9
	v_fma_f32 v15, -v11, v12, 1.0
	v_fmac_f32_e32 v12, v15, v12
	v_mul_f32_e32 v15, v14, v12
	v_fma_f32 v16, -v11, v15, v14
	v_fmac_f32_e32 v15, v16, v12
	v_fma_f32 v11, -v11, v15, v14
	v_div_fmas_f32 v11, v11, v12, v15
	v_div_fixup_f32 v9, v11, v13, v9
.LBB9_269:
	;; [unrolled: 50-line block ×15, first 2 shown]
	s_or_b64 exec, exec, s[0:1]
	ds_read_b32 v11, v8 offset:12544
	s_waitcnt lgkmcnt(0)
	v_mul_f32_e32 v11, v10, v11
	s_and_saveexec_b64 s[0:1], s[46:47]
	s_cbranch_execz .LBB9_323
; %bb.322:
	ds_read_b32 v12, v8 offset:12672
	s_waitcnt lgkmcnt(0)
	v_fmac_f32_e32 v11, v9, v12
.LBB9_323:
	s_or_b64 exec, exec, s[0:1]
	ds_bpermute_b32 v12, v3, v11
	s_waitcnt lgkmcnt(0)
	v_add_f32_e32 v11, v11, v12
	ds_bpermute_b32 v12, v4, v11
	s_waitcnt lgkmcnt(0)
	v_add_f32_e32 v11, v11, v12
	ds_bpermute_b32 v12, v5, v11
	s_waitcnt lgkmcnt(0)
	v_add_f32_e32 v11, v11, v12
	ds_bpermute_b32 v12, v6, v11
	s_waitcnt lgkmcnt(0)
	v_add_f32_e32 v11, v11, v12
	ds_bpermute_b32 v12, v7, v11
	s_and_saveexec_b64 s[0:1], s[12:13]
	s_cbranch_execz .LBB9_325
; %bb.324:
	v_mov_b32_e32 v13, 0
	ds_read_b32 v13, v13 offset:12740
	s_waitcnt lgkmcnt(1)
	v_add_f32_e32 v11, v11, v12
	v_sub_f32_e32 v9, v9, v11
	s_waitcnt lgkmcnt(0)
	v_div_scale_f32 v11, s[2:3], v13, v13, v9
	v_rcp_f32_e32 v12, v11
	v_div_scale_f32 v14, vcc, v9, v13, v9
	v_fma_f32 v15, -v11, v12, 1.0
	v_fmac_f32_e32 v12, v15, v12
	v_mul_f32_e32 v15, v14, v12
	v_fma_f32 v16, -v11, v15, v14
	v_fmac_f32_e32 v15, v16, v12
	v_fma_f32 v11, -v11, v15, v14
	v_div_fmas_f32 v11, v11, v12, v15
	v_div_fixup_f32 v9, v11, v13, v9
.LBB9_325:
	s_or_b64 exec, exec, s[0:1]
	ds_read_b32 v11, v8 offset:12800
	s_waitcnt lgkmcnt(0)
	v_mul_f32_e32 v11, v10, v11
	s_and_saveexec_b64 s[0:1], s[48:49]
	s_cbranch_execz .LBB9_327
; %bb.326:
	ds_read_b32 v12, v8 offset:12928
	s_waitcnt lgkmcnt(0)
	v_fmac_f32_e32 v11, v9, v12
.LBB9_327:
	s_or_b64 exec, exec, s[0:1]
	ds_bpermute_b32 v12, v3, v11
	s_waitcnt lgkmcnt(0)
	v_add_f32_e32 v11, v11, v12
	ds_bpermute_b32 v12, v4, v11
	s_waitcnt lgkmcnt(0)
	v_add_f32_e32 v11, v11, v12
	ds_bpermute_b32 v12, v5, v11
	s_waitcnt lgkmcnt(0)
	v_add_f32_e32 v11, v11, v12
	ds_bpermute_b32 v12, v6, v11
	s_waitcnt lgkmcnt(0)
	v_add_f32_e32 v11, v11, v12
	ds_bpermute_b32 v12, v7, v11
	s_and_saveexec_b64 s[0:1], s[14:15]
	s_cbranch_execz .LBB9_329
; %bb.328:
	v_mov_b32_e32 v13, 0
	ds_read_b32 v13, v13 offset:13000
	s_waitcnt lgkmcnt(1)
	v_add_f32_e32 v11, v11, v12
	v_sub_f32_e32 v9, v9, v11
	s_waitcnt lgkmcnt(0)
	v_div_scale_f32 v11, s[2:3], v13, v13, v9
	v_rcp_f32_e32 v12, v11
	v_div_scale_f32 v14, vcc, v9, v13, v9
	v_fma_f32 v15, -v11, v12, 1.0
	v_fmac_f32_e32 v12, v15, v12
	v_mul_f32_e32 v15, v14, v12
	v_fma_f32 v16, -v11, v15, v14
	v_fmac_f32_e32 v15, v16, v12
	v_fma_f32 v11, -v11, v15, v14
	v_div_fmas_f32 v11, v11, v12, v15
	v_div_fixup_f32 v9, v11, v13, v9
.LBB9_329:
	;; [unrolled: 46-line block ×14, first 2 shown]
	s_or_b64 exec, exec, s[0:1]
	ds_read_b32 v11, v8 offset:16128
	s_load_dwordx2 s[0:1], s[4:5], 0x10
	s_waitcnt lgkmcnt(0)
	v_mul_f32_e32 v11, v10, v11
	s_mov_b64 s[2:3], exec
	v_readlane_b32 s4, v17, 40
	v_readlane_b32 s5, v17, 41
	s_and_b64 s[4:5], s[2:3], s[4:5]
	s_mov_b64 exec, s[4:5]
	s_cbranch_execz .LBB9_379
; %bb.378:
	ds_read_b32 v8, v8 offset:16256
	s_waitcnt lgkmcnt(0)
	v_fmac_f32_e32 v11, v9, v8
.LBB9_379:
	s_or_b64 exec, exec, s[2:3]
	ds_bpermute_b32 v3, v3, v11
	s_waitcnt lgkmcnt(0)
	v_add_f32_e32 v3, v11, v3
	ds_bpermute_b32 v4, v4, v3
	s_waitcnt lgkmcnt(0)
	v_add_f32_e32 v3, v3, v4
	;; [unrolled: 3-line block ×4, first 2 shown]
	ds_bpermute_b32 v4, v7, v3
	s_mov_b64 s[2:3], exec
	v_readlane_b32 s4, v17, 42
	v_readlane_b32 s5, v17, 43
	s_and_b64 s[4:5], s[2:3], s[4:5]
	s_mov_b64 exec, s[4:5]
	s_cbranch_execz .LBB9_381
; %bb.380:
	v_mov_b32_e32 v5, 0
	ds_read_b32 v5, v5 offset:16380
	s_waitcnt lgkmcnt(1)
	v_add_f32_e32 v3, v3, v4
	v_sub_f32_e32 v3, v9, v3
	s_waitcnt lgkmcnt(0)
	v_div_scale_f32 v4, s[4:5], v5, v5, v3
	v_rcp_f32_e32 v6, v4
	v_div_scale_f32 v7, vcc, v3, v5, v3
	v_fma_f32 v8, -v4, v6, 1.0
	v_fmac_f32_e32 v6, v8, v6
	v_mul_f32_e32 v8, v7, v6
	v_fma_f32 v9, -v4, v8, v7
	v_fmac_f32_e32 v8, v9, v6
	v_fma_f32 v4, -v4, v8, v7
	v_div_fmas_f32 v4, v4, v6, v8
	v_div_fixup_f32 v9, v4, v5, v3
.LBB9_381:
	s_or_b64 exec, exec, s[2:3]
	v_readlane_b32 s4, v17, 0
	v_readlane_b32 s5, v17, 1
	;; [unrolled: 1-line block ×4, first 2 shown]
	s_mul_i32 s2, s44, s5
	s_mul_hi_u32 s3, s44, s4
	s_add_i32 s3, s3, s2
	s_mul_i32 s2, s44, s4
	s_mul_i32 s4, s33, s7
	s_mul_hi_u32 s5, s33, s6
	s_add_i32 s5, s5, s4
	s_lshl_b64 s[2:3], s[2:3], 2
	s_mul_i32 s4, s33, s6
	s_add_u32 s2, s0, s2
	s_addc_u32 s3, s1, s3
	s_lshl_b64 s[0:1], s[4:5], 2
	s_add_u32 s0, s2, s0
	s_addc_u32 s1, s3, s1
	s_mov_b64 s[2:3], exec
	v_readlane_b32 s4, v17, 4
	v_readlane_b32 s5, v17, 5
	s_and_b64 s[4:5], s[2:3], s[4:5]
	s_mov_b64 exec, s[4:5]
	s_cbranch_execz .LBB9_383
; %bb.382:
	v_readlane_b32 s4, v17, 6
	v_readlane_b32 s5, v17, 7
	v_lshl_or_b32 v0, v0, 3, v1
	v_cndmask_b32_e64 v3, v9, v10, s[4:5]
	global_store_dword v0, v3, s[0:1]
.LBB9_383:
	s_or_b64 exec, exec, s[2:3]
	v_readlane_b32 s2, v17, 6
	v_readlane_b32 s3, v17, 7
	s_and_b64 exec, exec, s[2:3]
	s_cbranch_execz .LBB9_385
; %bb.384:
	v_lshl_or_b32 v0, v2, 3, v1
	global_store_dword v0, v9, s[0:1]
.LBB9_385:
	s_endpgm
	.section	.rodata,"a",@progbits
	.p2align	6, 0x0
	.amdhsa_kernel _ZL18solve_tri_f32_fastILi64ELi2EEvPKfS1_Pf15HIP_vector_typeIjLj3EEmmmmmmii
		.amdhsa_group_segment_fixed_size 16384
		.amdhsa_private_segment_fixed_size 0
		.amdhsa_kernarg_size 352
		.amdhsa_user_sgpr_count 6
		.amdhsa_user_sgpr_private_segment_buffer 1
		.amdhsa_user_sgpr_dispatch_ptr 0
		.amdhsa_user_sgpr_queue_ptr 0
		.amdhsa_user_sgpr_kernarg_segment_ptr 1
		.amdhsa_user_sgpr_dispatch_id 0
		.amdhsa_user_sgpr_flat_scratch_init 0
		.amdhsa_user_sgpr_kernarg_preload_length 0
		.amdhsa_user_sgpr_kernarg_preload_offset 0
		.amdhsa_user_sgpr_private_segment_size 0
		.amdhsa_uses_dynamic_stack 0
		.amdhsa_system_sgpr_private_segment_wavefront_offset 0
		.amdhsa_system_sgpr_workgroup_id_x 1
		.amdhsa_system_sgpr_workgroup_id_y 0
		.amdhsa_system_sgpr_workgroup_id_z 0
		.amdhsa_system_sgpr_workgroup_info 0
		.amdhsa_system_vgpr_workitem_id 1
		.amdhsa_next_free_vgpr 18
		.amdhsa_next_free_sgpr 96
		.amdhsa_accum_offset 20
		.amdhsa_reserve_vcc 1
		.amdhsa_reserve_flat_scratch 0
		.amdhsa_float_round_mode_32 0
		.amdhsa_float_round_mode_16_64 0
		.amdhsa_float_denorm_mode_32 3
		.amdhsa_float_denorm_mode_16_64 3
		.amdhsa_dx10_clamp 1
		.amdhsa_ieee_mode 1
		.amdhsa_fp16_overflow 0
		.amdhsa_tg_split 0
		.amdhsa_exception_fp_ieee_invalid_op 0
		.amdhsa_exception_fp_denorm_src 0
		.amdhsa_exception_fp_ieee_div_zero 0
		.amdhsa_exception_fp_ieee_overflow 0
		.amdhsa_exception_fp_ieee_underflow 0
		.amdhsa_exception_fp_ieee_inexact 0
		.amdhsa_exception_int_div_zero 0
	.end_amdhsa_kernel
	.section	.text._ZL18solve_tri_f32_fastILi64ELi2EEvPKfS1_Pf15HIP_vector_typeIjLj3EEmmmmmmii,"axG",@progbits,_ZL18solve_tri_f32_fastILi64ELi2EEvPKfS1_Pf15HIP_vector_typeIjLj3EEmmmmmmii,comdat
.Lfunc_end9:
	.size	_ZL18solve_tri_f32_fastILi64ELi2EEvPKfS1_Pf15HIP_vector_typeIjLj3EEmmmmmmii, .Lfunc_end9-_ZL18solve_tri_f32_fastILi64ELi2EEvPKfS1_Pf15HIP_vector_typeIjLj3EEmmmmmmii
                                        ; -- End function
	.section	.AMDGPU.csdata,"",@progbits
; Kernel info:
; codeLenInByte = 19428
; NumSgprs: 100
; NumVgprs: 18
; NumAgprs: 0
; TotalNumVgprs: 18
; ScratchSize: 0
; MemoryBound: 0
; FloatMode: 240
; IeeeMode: 1
; LDSByteSize: 16384 bytes/workgroup (compile time only)
; SGPRBlocks: 12
; VGPRBlocks: 2
; NumSGPRsForWavesPerEU: 100
; NumVGPRsForWavesPerEU: 18
; AccumOffset: 20
; Occupancy: 8
; WaveLimiterHint : 0
; COMPUTE_PGM_RSRC2:SCRATCH_EN: 0
; COMPUTE_PGM_RSRC2:USER_SGPR: 6
; COMPUTE_PGM_RSRC2:TRAP_HANDLER: 0
; COMPUTE_PGM_RSRC2:TGID_X_EN: 1
; COMPUTE_PGM_RSRC2:TGID_Y_EN: 0
; COMPUTE_PGM_RSRC2:TGID_Z_EN: 0
; COMPUTE_PGM_RSRC2:TIDIG_COMP_CNT: 1
; COMPUTE_PGM_RSRC3_GFX90A:ACCUM_OFFSET: 4
; COMPUTE_PGM_RSRC3_GFX90A:TG_SPLIT: 0
	.section	.text._ZL18solve_tri_f32_fastILi64ELi1EEvPKfS1_Pf15HIP_vector_typeIjLj3EEmmmmmmii,"axG",@progbits,_ZL18solve_tri_f32_fastILi64ELi1EEvPKfS1_Pf15HIP_vector_typeIjLj3EEmmmmmmii,comdat
	.globl	_ZL18solve_tri_f32_fastILi64ELi1EEvPKfS1_Pf15HIP_vector_typeIjLj3EEmmmmmmii ; -- Begin function _ZL18solve_tri_f32_fastILi64ELi1EEvPKfS1_Pf15HIP_vector_typeIjLj3EEmmmmmmii
	.p2align	8
	.type	_ZL18solve_tri_f32_fastILi64ELi1EEvPKfS1_Pf15HIP_vector_typeIjLj3EEmmmmmmii,@function
_ZL18solve_tri_f32_fastILi64ELi1EEvPKfS1_Pf15HIP_vector_typeIjLj3EEmmmmmmii: ; @_ZL18solve_tri_f32_fastILi64ELi1EEvPKfS1_Pf15HIP_vector_typeIjLj3EEmmmmmmii
; %bb.0:
	v_bfe_u32 v1, v0, 10, 10
	v_cmp_eq_u32_e32 vcc, 0, v1
	s_and_saveexec_b64 s[0:1], vcc
	s_cbranch_execz .LBB10_321
; %bb.1:
	s_load_dwordx4 s[0:3], s[4:5], 0x18
	s_load_dwordx2 s[16:17], s[4:5], 0x0
	s_load_dwordx8 s[8:15], s[4:5], 0x28
	v_and_b32_e32 v8, 0x3ff, v0
	v_lshlrev_b32_e32 v0, 2, v8
	s_waitcnt lgkmcnt(0)
	s_mul_hi_u32 s0, s0, s6
	s_add_i32 s0, s6, s0
	s_lshr_b32 s33, s0, s1
	s_mul_i32 s0, s33, s2
	s_sub_i32 s44, s6, s0
	s_mul_i32 s0, s44, s9
	s_mul_hi_u32 s1, s44, s8
	s_add_i32 s1, s1, s0
	s_mul_i32 s0, s44, s8
	s_lshl_b64 s[0:1], s[0:1], 2
	s_add_u32 s2, s16, s0
	s_addc_u32 s3, s17, s1
	s_mul_i32 s0, s33, s11
	s_mul_hi_u32 s1, s33, s10
	s_add_i32 s1, s1, s0
	s_mul_i32 s0, s33, s10
	s_lshl_b64 s[0:1], s[0:1], 2
	s_add_u32 s0, s2, s0
	s_addc_u32 s1, s3, s1
	v_mov_b32_e32 v1, s1
	v_add_co_u32_e32 v2, vcc, s0, v0
	v_addc_co_u32_e32 v1, vcc, 0, v1, vcc
	s_movk_i32 s2, 0x1000
	v_or_b32_e32 v38, 0x1000, v0
	v_add_co_u32_e32 v4, vcc, s2, v2
	global_load_dword v3, v0, s[0:1]
	global_load_dword v6, v0, s[0:1] offset:128
	global_load_dword v7, v0, s[0:1] offset:256
	;; [unrolled: 1-line block ×31, first 2 shown]
	v_addc_co_u32_e32 v5, vcc, 0, v1, vcc
	global_load_dword v39, v38, s[0:1]
	global_load_dword v40, v[4:5], off offset:128
	global_load_dword v44, v[4:5], off offset:256
	;; [unrolled: 1-line block ×7, first 2 shown]
	v_add_u32_e32 v38, 0x400, v0
	v_add_u32_e32 v41, 0x800, v0
	;; [unrolled: 1-line block ×4, first 2 shown]
	s_movk_i32 s2, 0x2000
	s_waitcnt vmcnt(38)
	ds_write2_b32 v0, v3, v6 offset1:32
	s_waitcnt vmcnt(36)
	ds_write2_b32 v0, v7, v9 offset0:64 offset1:96
	s_waitcnt vmcnt(34)
	ds_write2_b32 v0, v10, v11 offset0:128 offset1:160
	s_waitcnt vmcnt(32)
	ds_write2_b32 v0, v12, v13 offset0:192 offset1:224
	s_waitcnt vmcnt(30)
	ds_write2_b32 v38, v14, v15 offset1:32
	s_waitcnt vmcnt(28)
	ds_write2_b32 v38, v16, v17 offset0:64 offset1:96
	s_waitcnt vmcnt(26)
	ds_write2_b32 v38, v18, v19 offset0:128 offset1:160
	s_waitcnt vmcnt(24)
	ds_write2_b32 v38, v20, v21 offset0:192 offset1:224
	;; [unrolled: 8-line block ×4, first 2 shown]
	s_waitcnt vmcnt(6)
	ds_write2_b32 v43, v39, v40 offset1:32
	global_load_dword v3, v[4:5], off offset:1024
	global_load_dword v6, v[4:5], off offset:1152
	;; [unrolled: 1-line block ×24, first 2 shown]
	v_or_b32_e32 v30, 0x2000, v0
	v_add_co_u32_e32 v4, vcc, s2, v2
	v_addc_co_u32_e32 v5, vcc, 0, v1, vcc
	global_load_dword v31, v30, s[0:1]
	global_load_dword v32, v[4:5], off offset:128
	global_load_dword v33, v[4:5], off offset:256
	;; [unrolled: 1-line block ×14, first 2 shown]
                                        ; kill: killed $vgpr30
	global_load_dword v30, v[4:5], off offset:1920
	global_load_dword v53, v[4:5], off offset:2048
	;; [unrolled: 1-line block ×16, first 2 shown]
	s_nop 0
	global_load_dword v4, v[4:5], off offset:3968
	v_or_b32_e32 v5, 0x3000, v0
	global_load_dword v5, v5, s[0:1]
	s_waitcnt vmcnt(61)
	ds_write2_b32 v43, v44, v45 offset0:64 offset1:96
	v_add_u32_e32 v44, 0x1400, v0
	s_movk_i32 s2, 0x3e0
	v_cmp_gt_u32_e32 vcc, s2, v8
	s_waitcnt vmcnt(59)
	ds_write2_b32 v43, v46, v47 offset0:128 offset1:160
	s_waitcnt vmcnt(57)
	ds_write2_b32 v43, v48, v49 offset0:192 offset1:224
	s_waitcnt vmcnt(55)
	ds_write2_b32 v44, v3, v6 offset1:32
	s_waitcnt vmcnt(53)
	ds_write2_b32 v44, v7, v9 offset0:64 offset1:96
	s_waitcnt vmcnt(51)
	ds_write2_b32 v44, v10, v11 offset0:128 offset1:160
	s_waitcnt vmcnt(49)
	ds_write2_b32 v44, v12, v13 offset0:192 offset1:224
	v_add_u32_e32 v3, 0x1800, v0
	s_waitcnt vmcnt(47)
	ds_write2_b32 v3, v14, v15 offset1:32
	s_waitcnt vmcnt(45)
	ds_write2_b32 v3, v16, v17 offset0:64 offset1:96
	s_waitcnt vmcnt(43)
	ds_write2_b32 v3, v18, v19 offset0:128 offset1:160
	s_waitcnt vmcnt(41)
	ds_write2_b32 v3, v20, v21 offset0:192 offset1:224
	v_add_u32_e32 v3, 0x1c00, v0
	;; [unrolled: 9-line block ×6, first 2 shown]
	s_waitcnt vmcnt(7)
	ds_write2_b32 v3, v61, v62 offset1:32
	s_waitcnt vmcnt(5)
	ds_write2_b32 v3, v63, v64 offset0:64 offset1:96
	s_waitcnt vmcnt(3)
	ds_write2_b32 v3, v65, v66 offset0:128 offset1:160
	;; [unrolled: 2-line block ×3, first 2 shown]
	s_waitcnt vmcnt(0)
	ds_write_b32 v0, v5 offset:12288
	s_and_saveexec_b64 s[2:3], vcc
	s_cbranch_execz .LBB10_3
; %bb.2:
	v_add_co_u32_e32 v4, vcc, 0x3000, v2
	v_addc_co_u32_e32 v5, vcc, 0, v1, vcc
	global_load_dword v3, v[4:5], off offset:128
	s_waitcnt vmcnt(0)
	ds_write_b32 v0, v3 offset:12416
.LBB10_3:
	s_or_b64 exec, exec, s[2:3]
	s_movk_i32 s2, 0x3c0
	v_cmp_gt_u32_e32 vcc, s2, v8
	s_and_saveexec_b64 s[2:3], vcc
	s_cbranch_execz .LBB10_5
; %bb.4:
	v_add_co_u32_e32 v4, vcc, 0x3000, v2
	v_addc_co_u32_e32 v5, vcc, 0, v1, vcc
	global_load_dword v3, v[4:5], off offset:256
	s_waitcnt vmcnt(0)
	ds_write_b32 v0, v3 offset:12544
.LBB10_5:
	s_or_b64 exec, exec, s[2:3]
	s_movk_i32 s2, 0x3a0
	v_cmp_gt_u32_e32 vcc, s2, v8
	;; [unrolled: 12-line block ×27, first 2 shown]
	s_and_saveexec_b64 s[2:3], vcc
	s_cbranch_execz .LBB10_57
; %bb.56:
	v_add_co_u32_e32 v4, vcc, 0x3000, v2
	v_addc_co_u32_e32 v5, vcc, 0, v1, vcc
	global_load_dword v3, v[4:5], off offset:3584
	s_waitcnt vmcnt(0)
	ds_write_b32 v0, v3 offset:15872
.LBB10_57:
	s_or_b64 exec, exec, s[2:3]
	s_load_dwordx4 s[8:11], s[4:5], 0x48
                                        ; implicit-def: $vgpr68 : SGPR spill to VGPR lane
	s_movk_i32 s2, 0x60
	v_cmp_gt_u32_e32 vcc, s2, v8
	s_waitcnt lgkmcnt(0)
	v_writelane_b32 v68, s8, 0
	v_writelane_b32 v68, s9, 1
	;; [unrolled: 1-line block ×4, first 2 shown]
	s_and_saveexec_b64 s[2:3], vcc
	s_cbranch_execz .LBB10_59
; %bb.58:
	v_add_co_u32_e32 v4, vcc, 0x3000, v2
	v_addc_co_u32_e32 v5, vcc, 0, v1, vcc
	global_load_dword v3, v[4:5], off offset:3712
	s_waitcnt vmcnt(0)
	ds_write_b32 v0, v3 offset:16000
.LBB10_59:
	s_or_b64 exec, exec, s[2:3]
	s_load_dwordx2 s[2:3], s[4:5], 0x8
	v_cmp_gt_u32_e64 s[8:9], 64, v8
	s_mov_b64 s[6:7], exec
	v_writelane_b32 v68, s8, 4
	v_writelane_b32 v68, s9, 5
	s_and_b64 s[8:9], s[6:7], s[8:9]
	s_mov_b64 exec, s[8:9]
	s_cbranch_execz .LBB10_61
; %bb.60:
	v_add_co_u32_e32 v2, vcc, 0x3000, v2
	v_addc_co_u32_e32 v3, vcc, 0, v1, vcc
	global_load_dword v1, v[2:3], off offset:3840
	s_waitcnt vmcnt(0)
	ds_write_b32 v0, v1 offset:16128
.LBB10_61:
	s_or_b64 exec, exec, s[6:7]
	v_cmp_gt_u32_e64 s[8:9], 32, v8
	s_mov_b64 s[6:7], exec
	v_writelane_b32 v68, s8, 6
	v_writelane_b32 v68, s9, 7
	s_and_b64 s[8:9], s[6:7], s[8:9]
	s_mov_b64 exec, s[8:9]
	s_cbranch_execz .LBB10_63
; %bb.62:
	v_mov_b32_e32 v1, 0x3f80
	v_lshl_or_b32 v1, v8, 2, v1
	global_load_dword v1, v1, s[0:1]
	s_waitcnt vmcnt(0)
	ds_write_b32 v0, v1 offset:16256
.LBB10_63:
	s_or_b64 exec, exec, s[6:7]
	s_mul_i32 s0, s44, s13
	s_mul_hi_u32 s1, s44, s12
	s_add_i32 s1, s1, s0
	s_mul_i32 s0, s44, s12
	s_mul_i32 s6, s33, s15
	s_mul_hi_u32 s7, s33, s14
	s_add_i32 s7, s7, s6
	s_lshl_b64 s[0:1], s[0:1], 2
	s_mul_i32 s6, s33, s14
	s_waitcnt lgkmcnt(0)
	s_add_u32 s2, s2, s0
	s_addc_u32 s3, s3, s1
	s_lshl_b64 s[0:1], s[6:7], 2
	s_add_u32 s0, s2, s0
	s_addc_u32 s1, s3, s1
	v_mov_b32_e32 v6, 0
	v_mov_b32_e32 v7, 0
	s_barrier
	s_mov_b64 s[2:3], exec
	v_readlane_b32 s6, v68, 4
	v_readlane_b32 s7, v68, 5
	s_and_b64 s[6:7], s[2:3], s[6:7]
	s_mov_b64 exec, s[6:7]
	s_cbranch_execz .LBB10_65
; %bb.64:
	global_load_dword v7, v0, s[0:1]
.LBB10_65:
	s_or_b64 exec, exec, s[2:3]
	s_mov_b64 s[2:3], exec
	v_readlane_b32 s6, v68, 6
	v_readlane_b32 s7, v68, 7
	s_and_b64 s[6:7], s[2:3], s[6:7]
	s_mov_b64 exec, s[6:7]
	s_cbranch_execz .LBB10_67
; %bb.66:
	global_load_dword v6, v0, s[0:1] offset:128
.LBB10_67:
	s_or_b64 exec, exec, s[2:3]
	v_mbcnt_lo_u32_b32 v1, -1, 0
	v_mbcnt_hi_u32_b32 v5, -1, v1
	v_and_b32_e32 v1, 0x60, v5
	v_add_u32_e32 v10, 32, v1
	v_xor_b32_e32 v1, 16, v5
	v_cmp_lt_i32_e32 vcc, v1, v10
	v_cndmask_b32_e32 v1, v5, v1, vcc
	v_mov_b32_e32 v9, 0
	v_lshlrev_b32_e32 v1, 2, v1
	ds_bpermute_b32 v3, v1, v9
	v_xor_b32_e32 v2, 8, v5
	v_cmp_lt_i32_e32 vcc, v2, v10
	v_cndmask_b32_e32 v2, v5, v2, vcc
	v_lshlrev_b32_e32 v2, 2, v2
	s_waitcnt lgkmcnt(0)
	v_add_f32_e32 v4, 0, v3
	ds_bpermute_b32 v11, v2, v4
	v_xor_b32_e32 v3, 4, v5
	v_cmp_lt_i32_e32 vcc, v3, v10
	v_cndmask_b32_e32 v3, v5, v3, vcc
	v_lshlrev_b32_e32 v3, 2, v3
	s_waitcnt lgkmcnt(0)
	v_add_f32_e32 v11, v4, v11
	;; [unrolled: 7-line block ×4, first 2 shown]
	ds_bpermute_b32 v11, v5, v10
	v_cmp_eq_u32_e64 s[6:7], 0, v8
	s_and_saveexec_b64 s[0:1], s[6:7]
	s_cbranch_execz .LBB10_69
; %bb.68:
	v_mov_b32_e32 v12, 0
	ds_read_b32 v12, v12
	s_waitcnt lgkmcnt(1)
	v_add_f32_e32 v10, v10, v11
	s_waitcnt vmcnt(0)
	v_sub_f32_e32 v7, v7, v10
	s_waitcnt lgkmcnt(0)
	v_div_scale_f32 v10, s[2:3], v12, v12, v7
	v_rcp_f32_e32 v11, v10
	v_div_scale_f32 v13, vcc, v7, v12, v7
	v_fma_f32 v14, -v10, v11, 1.0
	v_fmac_f32_e32 v11, v14, v11
	v_mul_f32_e32 v14, v13, v11
	v_fma_f32 v15, -v10, v14, v13
	v_fmac_f32_e32 v14, v15, v11
	v_fma_f32 v10, -v10, v14, v13
	v_div_fmas_f32 v10, v10, v11, v14
	v_div_fixup_f32 v7, v10, v12, v7
.LBB10_69:
	s_or_b64 exec, exec, s[0:1]
	s_and_saveexec_b64 s[0:1], s[6:7]
	s_cbranch_execz .LBB10_71
; %bb.70:
	v_mov_b32_e32 v9, 0
	ds_read_b32 v9, v9 offset:256
	s_waitcnt vmcnt(0) lgkmcnt(0)
	v_fma_f32 v9, v7, v9, 0
.LBB10_71:
	s_or_b64 exec, exec, s[0:1]
	ds_bpermute_b32 v10, v1, v9
	v_cmp_eq_u32_e64 s[2:3], 1, v8
	s_waitcnt lgkmcnt(0)
	v_add_f32_e32 v9, v9, v10
	ds_bpermute_b32 v10, v2, v9
	s_waitcnt lgkmcnt(0)
	v_add_f32_e32 v9, v9, v10
	ds_bpermute_b32 v10, v3, v9
	;; [unrolled: 3-line block ×4, first 2 shown]
	s_mov_b64 s[0:1], exec
	v_writelane_b32 v68, s2, 8
	v_writelane_b32 v68, s3, 9
	s_and_b64 s[2:3], s[0:1], s[2:3]
	s_mov_b64 exec, s[2:3]
	s_cbranch_execz .LBB10_73
; %bb.72:
	v_mov_b32_e32 v11, 0
	ds_read_b32 v11, v11 offset:260
	s_waitcnt lgkmcnt(1)
	v_add_f32_e32 v9, v9, v10
	s_waitcnt vmcnt(0)
	v_sub_f32_e32 v7, v7, v9
	s_waitcnt lgkmcnt(0)
	v_div_scale_f32 v9, s[2:3], v11, v11, v7
	v_rcp_f32_e32 v10, v9
	v_div_scale_f32 v12, vcc, v7, v11, v7
	v_fma_f32 v13, -v9, v10, 1.0
	v_fmac_f32_e32 v10, v13, v10
	v_mul_f32_e32 v13, v12, v10
	v_fma_f32 v14, -v9, v13, v12
	v_fmac_f32_e32 v13, v14, v10
	v_fma_f32 v9, -v9, v13, v12
	v_div_fmas_f32 v9, v9, v10, v13
	v_div_fixup_f32 v7, v9, v11, v7
.LBB10_73:
	s_or_b64 exec, exec, s[0:1]
	v_mov_b32_e32 v9, 0
	v_cmp_gt_u32_e64 s[2:3], 2, v8
	s_mov_b64 s[0:1], exec
	v_writelane_b32 v68, s2, 10
	v_writelane_b32 v68, s3, 11
	s_and_b64 s[2:3], s[0:1], s[2:3]
	s_mov_b64 exec, s[2:3]
	s_cbranch_execz .LBB10_75
; %bb.74:
	ds_read_b32 v9, v0 offset:512
	s_waitcnt vmcnt(0) lgkmcnt(0)
	v_fma_f32 v9, v7, v9, 0
.LBB10_75:
	s_or_b64 exec, exec, s[0:1]
	s_waitcnt lgkmcnt(0)
	ds_bpermute_b32 v10, v1, v9
	v_cmp_eq_u32_e64 s[74:75], 2, v8
	s_waitcnt lgkmcnt(0)
	v_add_f32_e32 v9, v9, v10
	ds_bpermute_b32 v10, v2, v9
	s_waitcnt lgkmcnt(0)
	v_add_f32_e32 v9, v9, v10
	ds_bpermute_b32 v10, v3, v9
	s_waitcnt lgkmcnt(0)
	v_add_f32_e32 v9, v9, v10
	ds_bpermute_b32 v10, v4, v9
	s_waitcnt lgkmcnt(0)
	v_add_f32_e32 v9, v9, v10
	ds_bpermute_b32 v10, v5, v9
	s_and_saveexec_b64 s[0:1], s[74:75]
	s_cbranch_execz .LBB10_77
; %bb.76:
	v_mov_b32_e32 v11, 0
	ds_read_b32 v11, v11 offset:520
	s_waitcnt lgkmcnt(1)
	v_add_f32_e32 v9, v9, v10
	s_waitcnt vmcnt(0)
	v_sub_f32_e32 v7, v7, v9
	s_waitcnt lgkmcnt(0)
	v_div_scale_f32 v9, s[2:3], v11, v11, v7
	v_rcp_f32_e32 v10, v9
	v_div_scale_f32 v12, vcc, v7, v11, v7
	v_fma_f32 v13, -v9, v10, 1.0
	v_fmac_f32_e32 v10, v13, v10
	v_mul_f32_e32 v13, v12, v10
	v_fma_f32 v14, -v9, v13, v12
	v_fmac_f32_e32 v13, v14, v10
	v_fma_f32 v9, -v9, v13, v12
	v_div_fmas_f32 v9, v9, v10, v13
	v_div_fixup_f32 v7, v9, v11, v7
.LBB10_77:
	s_or_b64 exec, exec, s[0:1]
	v_mov_b32_e32 v9, 0
	v_cmp_gt_u32_e64 s[2:3], 3, v8
	s_mov_b64 s[0:1], exec
	v_writelane_b32 v68, s2, 12
	v_writelane_b32 v68, s3, 13
	s_and_b64 s[2:3], s[0:1], s[2:3]
	s_mov_b64 exec, s[2:3]
	s_cbranch_execz .LBB10_79
; %bb.78:
	ds_read_b32 v9, v0 offset:768
	s_waitcnt vmcnt(0) lgkmcnt(0)
	v_fma_f32 v9, v7, v9, 0
.LBB10_79:
	s_or_b64 exec, exec, s[0:1]
	s_waitcnt lgkmcnt(0)
	ds_bpermute_b32 v10, v1, v9
	v_cmp_eq_u32_e64 s[76:77], 3, v8
	s_waitcnt lgkmcnt(0)
	v_add_f32_e32 v9, v9, v10
	ds_bpermute_b32 v10, v2, v9
	s_waitcnt lgkmcnt(0)
	v_add_f32_e32 v9, v9, v10
	ds_bpermute_b32 v10, v3, v9
	s_waitcnt lgkmcnt(0)
	v_add_f32_e32 v9, v9, v10
	ds_bpermute_b32 v10, v4, v9
	s_waitcnt lgkmcnt(0)
	v_add_f32_e32 v9, v9, v10
	ds_bpermute_b32 v10, v5, v9
	s_and_saveexec_b64 s[0:1], s[76:77]
	;; [unrolled: 52-line block ×15, first 2 shown]
	s_cbranch_execz .LBB10_133
; %bb.132:
	v_mov_b32_e32 v11, 0
	ds_read_b32 v11, v11 offset:4160
	s_waitcnt lgkmcnt(1)
	v_add_f32_e32 v9, v9, v10
	s_waitcnt vmcnt(0)
	v_sub_f32_e32 v7, v7, v9
	s_waitcnt lgkmcnt(0)
	v_div_scale_f32 v9, s[14:15], v11, v11, v7
	v_rcp_f32_e32 v10, v9
	v_div_scale_f32 v12, vcc, v7, v11, v7
	v_fma_f32 v13, -v9, v10, 1.0
	v_fmac_f32_e32 v10, v13, v10
	v_mul_f32_e32 v13, v12, v10
	v_fma_f32 v14, -v9, v13, v12
	v_fmac_f32_e32 v13, v14, v10
	v_fma_f32 v9, -v9, v13, v12
	v_div_fmas_f32 v9, v9, v10, v13
	v_div_fixup_f32 v7, v9, v11, v7
.LBB10_133:
	s_or_b64 exec, exec, s[12:13]
	v_cmp_gt_u32_e64 s[46:47], 17, v8
	v_mov_b32_e32 v9, 0
	s_and_saveexec_b64 s[12:13], s[46:47]
	s_cbranch_execz .LBB10_135
; %bb.134:
	ds_read_b32 v9, v0 offset:4352
	s_waitcnt vmcnt(0) lgkmcnt(0)
	v_fma_f32 v9, v7, v9, 0
.LBB10_135:
	s_or_b64 exec, exec, s[12:13]
	s_waitcnt lgkmcnt(0)
	ds_bpermute_b32 v10, v1, v9
	v_cmp_eq_u32_e64 s[12:13], 17, v8
	s_waitcnt lgkmcnt(0)
	v_add_f32_e32 v9, v9, v10
	ds_bpermute_b32 v10, v2, v9
	s_waitcnt lgkmcnt(0)
	v_add_f32_e32 v9, v9, v10
	ds_bpermute_b32 v10, v3, v9
	s_waitcnt lgkmcnt(0)
	v_add_f32_e32 v9, v9, v10
	ds_bpermute_b32 v10, v4, v9
	s_waitcnt lgkmcnt(0)
	v_add_f32_e32 v9, v9, v10
	ds_bpermute_b32 v10, v5, v9
	s_and_saveexec_b64 s[14:15], s[12:13]
	s_cbranch_execz .LBB10_137
; %bb.136:
	v_mov_b32_e32 v11, 0
	ds_read_b32 v11, v11 offset:4420
	s_waitcnt lgkmcnt(1)
	v_add_f32_e32 v9, v9, v10
	s_waitcnt vmcnt(0)
	v_sub_f32_e32 v7, v7, v9
	s_waitcnt lgkmcnt(0)
	v_div_scale_f32 v9, s[16:17], v11, v11, v7
	v_rcp_f32_e32 v10, v9
	v_div_scale_f32 v12, vcc, v7, v11, v7
	v_fma_f32 v13, -v9, v10, 1.0
	v_fmac_f32_e32 v10, v13, v10
	v_mul_f32_e32 v13, v12, v10
	v_fma_f32 v14, -v9, v13, v12
	v_fmac_f32_e32 v13, v14, v10
	v_fma_f32 v9, -v9, v13, v12
	v_div_fmas_f32 v9, v9, v10, v13
	v_div_fixup_f32 v7, v9, v11, v7
.LBB10_137:
	s_or_b64 exec, exec, s[14:15]
	v_cmp_gt_u32_e64 s[48:49], 18, v8
	v_mov_b32_e32 v9, 0
	s_and_saveexec_b64 s[14:15], s[48:49]
	s_cbranch_execz .LBB10_139
; %bb.138:
	ds_read_b32 v9, v0 offset:4608
	s_waitcnt vmcnt(0) lgkmcnt(0)
	v_fma_f32 v9, v7, v9, 0
.LBB10_139:
	s_or_b64 exec, exec, s[14:15]
	s_waitcnt lgkmcnt(0)
	ds_bpermute_b32 v10, v1, v9
	v_cmp_eq_u32_e64 s[14:15], 18, v8
	s_waitcnt lgkmcnt(0)
	v_add_f32_e32 v9, v9, v10
	ds_bpermute_b32 v10, v2, v9
	s_waitcnt lgkmcnt(0)
	v_add_f32_e32 v9, v9, v10
	ds_bpermute_b32 v10, v3, v9
	s_waitcnt lgkmcnt(0)
	v_add_f32_e32 v9, v9, v10
	ds_bpermute_b32 v10, v4, v9
	s_waitcnt lgkmcnt(0)
	v_add_f32_e32 v9, v9, v10
	ds_bpermute_b32 v10, v5, v9
	s_and_saveexec_b64 s[16:17], s[14:15]
	;; [unrolled: 48-line block ×14, first 2 shown]
	s_cbranch_execz .LBB10_189
; %bb.188:
	v_mov_b32_e32 v11, 0
	ds_read_b32 v11, v11 offset:7800
	s_waitcnt lgkmcnt(1)
	v_add_f32_e32 v9, v9, v10
	s_waitcnt vmcnt(0)
	v_sub_f32_e32 v7, v7, v9
	s_waitcnt lgkmcnt(0)
	v_div_scale_f32 v9, vcc, v11, v11, v7
	v_rcp_f32_e32 v10, v9
	v_div_scale_f32 v12, vcc, v7, v11, v7
	v_fma_f32 v13, -v9, v10, 1.0
	v_fmac_f32_e32 v10, v13, v10
	v_mul_f32_e32 v13, v12, v10
	v_fma_f32 v14, -v9, v13, v12
	v_fmac_f32_e32 v13, v14, v10
	v_fma_f32 v9, -v9, v13, v12
	v_div_fmas_f32 v9, v9, v10, v13
	v_div_fixup_f32 v7, v9, v11, v7
.LBB10_189:
	s_or_b64 exec, exec, s[42:43]
	v_mov_b32_e32 v9, 0
	v_cmp_gt_u32_e32 vcc, 31, v8
	s_mov_b64 s[42:43], exec
	v_writelane_b32 v68, vcc_lo, 40
	v_writelane_b32 v68, vcc_hi, 41
	s_and_b64 vcc, s[42:43], vcc
	s_mov_b64 exec, vcc
	s_cbranch_execz .LBB10_191
; %bb.190:
	ds_read_b32 v9, v0 offset:7936
	s_waitcnt vmcnt(0) lgkmcnt(0)
	v_fma_f32 v9, v7, v9, 0
.LBB10_191:
	s_or_b64 exec, exec, s[42:43]
	s_waitcnt lgkmcnt(0)
	ds_bpermute_b32 v10, v1, v9
	v_cmp_eq_u32_e32 vcc, 31, v8
	s_waitcnt lgkmcnt(0)
	v_add_f32_e32 v9, v9, v10
	ds_bpermute_b32 v10, v2, v9
	s_waitcnt lgkmcnt(0)
	v_add_f32_e32 v9, v9, v10
	ds_bpermute_b32 v10, v3, v9
	;; [unrolled: 3-line block ×4, first 2 shown]
	s_mov_b64 s[42:43], exec
	v_writelane_b32 v68, vcc_lo, 42
	v_writelane_b32 v68, vcc_hi, 43
	s_and_b64 vcc, s[42:43], vcc
	s_mov_b64 exec, vcc
	s_cbranch_execz .LBB10_193
; %bb.192:
	v_mov_b32_e32 v8, 0
	ds_read_b32 v8, v8 offset:8060
	s_waitcnt lgkmcnt(1)
	v_add_f32_e32 v9, v9, v10
	s_waitcnt vmcnt(0)
	v_sub_f32_e32 v7, v7, v9
	s_waitcnt lgkmcnt(0)
	v_div_scale_f32 v9, vcc, v8, v8, v7
	v_rcp_f32_e32 v10, v9
	v_div_scale_f32 v11, vcc, v7, v8, v7
	v_fma_f32 v12, -v9, v10, 1.0
	v_fmac_f32_e32 v10, v12, v10
	v_mul_f32_e32 v12, v11, v10
	v_fma_f32 v13, -v9, v12, v11
	v_fmac_f32_e32 v12, v13, v10
	v_fma_f32 v9, -v9, v12, v11
	v_div_fmas_f32 v9, v9, v10, v12
	v_div_fixup_f32 v7, v9, v8, v7
.LBB10_193:
	s_or_b64 exec, exec, s[42:43]
	ds_read_b32 v8, v0 offset:8192
	s_waitcnt vmcnt(0) lgkmcnt(0)
	v_mul_f32_e32 v9, v7, v8
	ds_bpermute_b32 v9, v1, v9
	s_waitcnt lgkmcnt(0)
	v_fmac_f32_e32 v9, v7, v8
	ds_bpermute_b32 v8, v2, v9
	s_waitcnt lgkmcnt(0)
	v_add_f32_e32 v8, v9, v8
	ds_bpermute_b32 v9, v3, v8
	s_waitcnt lgkmcnt(0)
	v_add_f32_e32 v8, v8, v9
	;; [unrolled: 3-line block ×3, first 2 shown]
	ds_bpermute_b32 v9, v5, v8
	s_and_saveexec_b64 s[42:43], s[6:7]
	s_cbranch_execz .LBB10_195
; %bb.194:
	v_mov_b32_e32 v10, 0
	ds_read_b32 v10, v10 offset:8320
	s_waitcnt lgkmcnt(1)
	v_add_f32_e32 v8, v8, v9
	v_sub_f32_e32 v6, v6, v8
	s_waitcnt lgkmcnt(0)
	v_div_scale_f32 v8, vcc, v10, v10, v6
	v_rcp_f32_e32 v9, v8
	v_div_scale_f32 v11, vcc, v6, v10, v6
	v_fma_f32 v12, -v8, v9, 1.0
	v_fmac_f32_e32 v9, v12, v9
	v_mul_f32_e32 v12, v11, v9
	v_fma_f32 v13, -v8, v12, v11
	v_fmac_f32_e32 v12, v13, v9
	v_fma_f32 v8, -v8, v12, v11
	v_div_fmas_f32 v8, v8, v9, v12
	v_div_fixup_f32 v6, v8, v10, v6
.LBB10_195:
	s_or_b64 exec, exec, s[42:43]
	v_mov_b32_e32 v8, 0
	s_waitcnt lgkmcnt(0)
	ds_read_b32 v9, v0 offset:8448
	ds_read_b32 v10, v8 offset:8576
	s_waitcnt lgkmcnt(1)
	v_mul_f32_e32 v9, v7, v9
	s_waitcnt lgkmcnt(0)
	v_fma_f32 v10, v6, v10, v9
	v_cndmask_b32_e64 v9, v9, v10, s[6:7]
	ds_bpermute_b32 v10, v1, v9
	s_waitcnt lgkmcnt(0)
	v_add_f32_e32 v9, v9, v10
	ds_bpermute_b32 v10, v2, v9
	s_waitcnt lgkmcnt(0)
	v_add_f32_e32 v9, v9, v10
	;; [unrolled: 3-line block ×4, first 2 shown]
	ds_bpermute_b32 v10, v5, v9
	s_mov_b64 s[6:7], exec
	v_readlane_b32 s42, v68, 8
	v_readlane_b32 s43, v68, 9
	s_and_b64 s[42:43], s[6:7], s[42:43]
	s_mov_b64 exec, s[42:43]
	s_cbranch_execz .LBB10_197
; %bb.196:
	ds_read_b32 v8, v8 offset:8580
	s_waitcnt lgkmcnt(1)
	v_add_f32_e32 v9, v9, v10
	v_sub_f32_e32 v6, v6, v9
	s_waitcnt lgkmcnt(0)
	v_div_scale_f32 v9, s[42:43], v8, v8, v6
	v_rcp_f32_e32 v10, v9
	v_div_scale_f32 v11, vcc, v6, v8, v6
	v_fma_f32 v12, -v9, v10, 1.0
	v_fmac_f32_e32 v10, v12, v10
	v_mul_f32_e32 v12, v11, v10
	v_fma_f32 v13, -v9, v12, v11
	v_fmac_f32_e32 v12, v13, v10
	v_fma_f32 v9, -v9, v12, v11
	v_div_fmas_f32 v9, v9, v10, v12
	v_div_fixup_f32 v6, v9, v8, v6
.LBB10_197:
	s_or_b64 exec, exec, s[6:7]
	ds_read_b32 v8, v0 offset:8704
	s_waitcnt lgkmcnt(0)
	v_mul_f32_e32 v8, v7, v8
	s_mov_b64 s[6:7], exec
	v_readlane_b32 s42, v68, 10
	v_readlane_b32 s43, v68, 11
	s_and_b64 s[42:43], s[6:7], s[42:43]
	s_mov_b64 exec, s[42:43]
	s_cbranch_execz .LBB10_199
; %bb.198:
	ds_read_b32 v9, v0 offset:8832
	s_waitcnt lgkmcnt(0)
	v_fmac_f32_e32 v8, v6, v9
.LBB10_199:
	s_or_b64 exec, exec, s[6:7]
	ds_bpermute_b32 v9, v1, v8
	s_waitcnt lgkmcnt(0)
	v_add_f32_e32 v8, v8, v9
	ds_bpermute_b32 v9, v2, v8
	s_waitcnt lgkmcnt(0)
	v_add_f32_e32 v8, v8, v9
	ds_bpermute_b32 v9, v3, v8
	s_waitcnt lgkmcnt(0)
	v_add_f32_e32 v8, v8, v9
	ds_bpermute_b32 v9, v4, v8
	s_waitcnt lgkmcnt(0)
	v_add_f32_e32 v8, v8, v9
	ds_bpermute_b32 v9, v5, v8
	s_and_saveexec_b64 s[6:7], s[74:75]
	s_cbranch_execz .LBB10_201
; %bb.200:
	v_mov_b32_e32 v10, 0
	ds_read_b32 v10, v10 offset:8840
	s_waitcnt lgkmcnt(1)
	v_add_f32_e32 v8, v8, v9
	v_sub_f32_e32 v6, v6, v8
	s_waitcnt lgkmcnt(0)
	v_div_scale_f32 v8, s[42:43], v10, v10, v6
	v_rcp_f32_e32 v9, v8
	v_div_scale_f32 v11, vcc, v6, v10, v6
	v_fma_f32 v12, -v8, v9, 1.0
	v_fmac_f32_e32 v9, v12, v9
	v_mul_f32_e32 v12, v11, v9
	v_fma_f32 v13, -v8, v12, v11
	v_fmac_f32_e32 v12, v13, v9
	v_fma_f32 v8, -v8, v12, v11
	v_div_fmas_f32 v8, v8, v9, v12
	v_div_fixup_f32 v6, v8, v10, v6
.LBB10_201:
	s_or_b64 exec, exec, s[6:7]
	ds_read_b32 v8, v0 offset:8960
	s_waitcnt lgkmcnt(0)
	v_mul_f32_e32 v8, v7, v8
	s_mov_b64 s[6:7], exec
	v_readlane_b32 s42, v68, 12
	v_readlane_b32 s43, v68, 13
	s_and_b64 s[42:43], s[6:7], s[42:43]
	s_mov_b64 exec, s[42:43]
	s_cbranch_execz .LBB10_203
; %bb.202:
	ds_read_b32 v9, v0 offset:9088
	s_waitcnt lgkmcnt(0)
	v_fmac_f32_e32 v8, v6, v9
.LBB10_203:
	s_or_b64 exec, exec, s[6:7]
	ds_bpermute_b32 v9, v1, v8
	s_waitcnt lgkmcnt(0)
	v_add_f32_e32 v8, v8, v9
	ds_bpermute_b32 v9, v2, v8
	s_waitcnt lgkmcnt(0)
	v_add_f32_e32 v8, v8, v9
	ds_bpermute_b32 v9, v3, v8
	s_waitcnt lgkmcnt(0)
	v_add_f32_e32 v8, v8, v9
	ds_bpermute_b32 v9, v4, v8
	s_waitcnt lgkmcnt(0)
	v_add_f32_e32 v8, v8, v9
	ds_bpermute_b32 v9, v5, v8
	s_and_saveexec_b64 s[6:7], s[76:77]
	s_cbranch_execz .LBB10_205
; %bb.204:
	v_mov_b32_e32 v10, 0
	ds_read_b32 v10, v10 offset:9100
	s_waitcnt lgkmcnt(1)
	v_add_f32_e32 v8, v8, v9
	v_sub_f32_e32 v6, v6, v8
	s_waitcnt lgkmcnt(0)
	v_div_scale_f32 v8, s[42:43], v10, v10, v6
	v_rcp_f32_e32 v9, v8
	v_div_scale_f32 v11, vcc, v6, v10, v6
	v_fma_f32 v12, -v8, v9, 1.0
	v_fmac_f32_e32 v9, v12, v9
	v_mul_f32_e32 v12, v11, v9
	v_fma_f32 v13, -v8, v12, v11
	v_fmac_f32_e32 v12, v13, v9
	v_fma_f32 v8, -v8, v12, v11
	v_div_fmas_f32 v8, v8, v9, v12
	v_div_fixup_f32 v6, v8, v10, v6
.LBB10_205:
	;; [unrolled: 50-line block ×15, first 2 shown]
	s_or_b64 exec, exec, s[0:1]
	ds_read_b32 v8, v0 offset:12544
	s_waitcnt lgkmcnt(0)
	v_mul_f32_e32 v8, v7, v8
	s_and_saveexec_b64 s[0:1], s[46:47]
	s_cbranch_execz .LBB10_259
; %bb.258:
	ds_read_b32 v9, v0 offset:12672
	s_waitcnt lgkmcnt(0)
	v_fmac_f32_e32 v8, v6, v9
.LBB10_259:
	s_or_b64 exec, exec, s[0:1]
	ds_bpermute_b32 v9, v1, v8
	s_waitcnt lgkmcnt(0)
	v_add_f32_e32 v8, v8, v9
	ds_bpermute_b32 v9, v2, v8
	s_waitcnt lgkmcnt(0)
	v_add_f32_e32 v8, v8, v9
	ds_bpermute_b32 v9, v3, v8
	s_waitcnt lgkmcnt(0)
	v_add_f32_e32 v8, v8, v9
	ds_bpermute_b32 v9, v4, v8
	s_waitcnt lgkmcnt(0)
	v_add_f32_e32 v8, v8, v9
	ds_bpermute_b32 v9, v5, v8
	s_and_saveexec_b64 s[0:1], s[12:13]
	s_cbranch_execz .LBB10_261
; %bb.260:
	v_mov_b32_e32 v10, 0
	ds_read_b32 v10, v10 offset:12740
	s_waitcnt lgkmcnt(1)
	v_add_f32_e32 v8, v8, v9
	v_sub_f32_e32 v6, v6, v8
	s_waitcnt lgkmcnt(0)
	v_div_scale_f32 v8, s[2:3], v10, v10, v6
	v_rcp_f32_e32 v9, v8
	v_div_scale_f32 v11, vcc, v6, v10, v6
	v_fma_f32 v12, -v8, v9, 1.0
	v_fmac_f32_e32 v9, v12, v9
	v_mul_f32_e32 v12, v11, v9
	v_fma_f32 v13, -v8, v12, v11
	v_fmac_f32_e32 v12, v13, v9
	v_fma_f32 v8, -v8, v12, v11
	v_div_fmas_f32 v8, v8, v9, v12
	v_div_fixup_f32 v6, v8, v10, v6
.LBB10_261:
	s_or_b64 exec, exec, s[0:1]
	ds_read_b32 v8, v0 offset:12800
	s_waitcnt lgkmcnt(0)
	v_mul_f32_e32 v8, v7, v8
	s_and_saveexec_b64 s[0:1], s[48:49]
	s_cbranch_execz .LBB10_263
; %bb.262:
	ds_read_b32 v9, v0 offset:12928
	s_waitcnt lgkmcnt(0)
	v_fmac_f32_e32 v8, v6, v9
.LBB10_263:
	s_or_b64 exec, exec, s[0:1]
	ds_bpermute_b32 v9, v1, v8
	s_waitcnt lgkmcnt(0)
	v_add_f32_e32 v8, v8, v9
	ds_bpermute_b32 v9, v2, v8
	s_waitcnt lgkmcnt(0)
	v_add_f32_e32 v8, v8, v9
	ds_bpermute_b32 v9, v3, v8
	s_waitcnt lgkmcnt(0)
	v_add_f32_e32 v8, v8, v9
	ds_bpermute_b32 v9, v4, v8
	s_waitcnt lgkmcnt(0)
	v_add_f32_e32 v8, v8, v9
	ds_bpermute_b32 v9, v5, v8
	s_and_saveexec_b64 s[0:1], s[14:15]
	s_cbranch_execz .LBB10_265
; %bb.264:
	v_mov_b32_e32 v10, 0
	ds_read_b32 v10, v10 offset:13000
	s_waitcnt lgkmcnt(1)
	v_add_f32_e32 v8, v8, v9
	v_sub_f32_e32 v6, v6, v8
	s_waitcnt lgkmcnt(0)
	v_div_scale_f32 v8, s[2:3], v10, v10, v6
	v_rcp_f32_e32 v9, v8
	v_div_scale_f32 v11, vcc, v6, v10, v6
	v_fma_f32 v12, -v8, v9, 1.0
	v_fmac_f32_e32 v9, v12, v9
	v_mul_f32_e32 v12, v11, v9
	v_fma_f32 v13, -v8, v12, v11
	v_fmac_f32_e32 v12, v13, v9
	v_fma_f32 v8, -v8, v12, v11
	v_div_fmas_f32 v8, v8, v9, v12
	v_div_fixup_f32 v6, v8, v10, v6
.LBB10_265:
	;; [unrolled: 46-line block ×14, first 2 shown]
	s_or_b64 exec, exec, s[0:1]
	ds_read_b32 v8, v0 offset:16128
	s_load_dwordx2 s[0:1], s[4:5], 0x10
	s_waitcnt lgkmcnt(0)
	v_mul_f32_e32 v8, v7, v8
	s_mov_b64 s[2:3], exec
	v_readlane_b32 s4, v68, 40
	v_readlane_b32 s5, v68, 41
	s_and_b64 s[4:5], s[2:3], s[4:5]
	s_mov_b64 exec, s[4:5]
	s_cbranch_execz .LBB10_315
; %bb.314:
	ds_read_b32 v9, v0 offset:16256
	s_waitcnt lgkmcnt(0)
	v_fmac_f32_e32 v8, v6, v9
.LBB10_315:
	s_or_b64 exec, exec, s[2:3]
	ds_bpermute_b32 v1, v1, v8
	s_waitcnt lgkmcnt(0)
	v_add_f32_e32 v1, v8, v1
	ds_bpermute_b32 v2, v2, v1
	s_waitcnt lgkmcnt(0)
	v_add_f32_e32 v1, v1, v2
	;; [unrolled: 3-line block ×4, first 2 shown]
	ds_bpermute_b32 v2, v5, v1
	s_mov_b64 s[2:3], exec
	v_readlane_b32 s4, v68, 42
	v_readlane_b32 s5, v68, 43
	s_and_b64 s[4:5], s[2:3], s[4:5]
	s_mov_b64 exec, s[4:5]
	s_cbranch_execz .LBB10_317
; %bb.316:
	v_mov_b32_e32 v3, 0
	ds_read_b32 v3, v3 offset:16380
	s_waitcnt lgkmcnt(1)
	v_add_f32_e32 v1, v1, v2
	v_sub_f32_e32 v1, v6, v1
	s_waitcnt lgkmcnt(0)
	v_div_scale_f32 v2, s[4:5], v3, v3, v1
	v_rcp_f32_e32 v4, v2
	v_div_scale_f32 v5, vcc, v1, v3, v1
	v_fma_f32 v6, -v2, v4, 1.0
	v_fmac_f32_e32 v4, v6, v4
	v_mul_f32_e32 v6, v5, v4
	v_fma_f32 v8, -v2, v6, v5
	v_fmac_f32_e32 v6, v8, v4
	v_fma_f32 v2, -v2, v6, v5
	v_div_fmas_f32 v2, v2, v4, v6
	v_div_fixup_f32 v6, v2, v3, v1
.LBB10_317:
	s_or_b64 exec, exec, s[2:3]
	v_readlane_b32 s4, v68, 0
	v_readlane_b32 s5, v68, 1
	;; [unrolled: 1-line block ×4, first 2 shown]
	s_mul_i32 s2, s44, s5
	s_mul_hi_u32 s3, s44, s4
	s_add_i32 s3, s3, s2
	s_mul_i32 s2, s44, s4
	s_mul_i32 s4, s33, s7
	s_mul_hi_u32 s5, s33, s6
	s_add_i32 s5, s5, s4
	s_lshl_b64 s[2:3], s[2:3], 2
	s_mul_i32 s4, s33, s6
	s_add_u32 s2, s0, s2
	s_addc_u32 s3, s1, s3
	s_lshl_b64 s[0:1], s[4:5], 2
	s_add_u32 s0, s2, s0
	s_addc_u32 s1, s3, s1
	s_mov_b64 s[2:3], exec
	v_readlane_b32 s4, v68, 4
	v_readlane_b32 s5, v68, 5
	s_and_b64 s[4:5], s[2:3], s[4:5]
	s_mov_b64 exec, s[4:5]
	s_cbranch_execz .LBB10_319
; %bb.318:
	v_readlane_b32 s4, v68, 6
	v_readlane_b32 s5, v68, 7
	v_cndmask_b32_e64 v1, v6, v7, s[4:5]
	global_store_dword v0, v1, s[0:1]
.LBB10_319:
	s_or_b64 exec, exec, s[2:3]
	v_readlane_b32 s2, v68, 6
	v_readlane_b32 s3, v68, 7
	s_and_b64 exec, exec, s[2:3]
	s_cbranch_execz .LBB10_321
; %bb.320:
	global_store_dword v0, v6, s[0:1] offset:128
.LBB10_321:
	s_endpgm
	.section	.rodata,"a",@progbits
	.p2align	6, 0x0
	.amdhsa_kernel _ZL18solve_tri_f32_fastILi64ELi1EEvPKfS1_Pf15HIP_vector_typeIjLj3EEmmmmmmii
		.amdhsa_group_segment_fixed_size 16384
		.amdhsa_private_segment_fixed_size 0
		.amdhsa_kernarg_size 96
		.amdhsa_user_sgpr_count 6
		.amdhsa_user_sgpr_private_segment_buffer 1
		.amdhsa_user_sgpr_dispatch_ptr 0
		.amdhsa_user_sgpr_queue_ptr 0
		.amdhsa_user_sgpr_kernarg_segment_ptr 1
		.amdhsa_user_sgpr_dispatch_id 0
		.amdhsa_user_sgpr_flat_scratch_init 0
		.amdhsa_user_sgpr_kernarg_preload_length 0
		.amdhsa_user_sgpr_kernarg_preload_offset 0
		.amdhsa_user_sgpr_private_segment_size 0
		.amdhsa_uses_dynamic_stack 0
		.amdhsa_system_sgpr_private_segment_wavefront_offset 0
		.amdhsa_system_sgpr_workgroup_id_x 1
		.amdhsa_system_sgpr_workgroup_id_y 0
		.amdhsa_system_sgpr_workgroup_id_z 0
		.amdhsa_system_sgpr_workgroup_info 0
		.amdhsa_system_vgpr_workitem_id 1
		.amdhsa_next_free_vgpr 69
		.amdhsa_next_free_sgpr 96
		.amdhsa_accum_offset 72
		.amdhsa_reserve_vcc 1
		.amdhsa_reserve_flat_scratch 0
		.amdhsa_float_round_mode_32 0
		.amdhsa_float_round_mode_16_64 0
		.amdhsa_float_denorm_mode_32 3
		.amdhsa_float_denorm_mode_16_64 3
		.amdhsa_dx10_clamp 1
		.amdhsa_ieee_mode 1
		.amdhsa_fp16_overflow 0
		.amdhsa_tg_split 0
		.amdhsa_exception_fp_ieee_invalid_op 0
		.amdhsa_exception_fp_denorm_src 0
		.amdhsa_exception_fp_ieee_div_zero 0
		.amdhsa_exception_fp_ieee_overflow 0
		.amdhsa_exception_fp_ieee_underflow 0
		.amdhsa_exception_fp_ieee_inexact 0
		.amdhsa_exception_int_div_zero 0
	.end_amdhsa_kernel
	.section	.text._ZL18solve_tri_f32_fastILi64ELi1EEvPKfS1_Pf15HIP_vector_typeIjLj3EEmmmmmmii,"axG",@progbits,_ZL18solve_tri_f32_fastILi64ELi1EEvPKfS1_Pf15HIP_vector_typeIjLj3EEmmmmmmii,comdat
.Lfunc_end10:
	.size	_ZL18solve_tri_f32_fastILi64ELi1EEvPKfS1_Pf15HIP_vector_typeIjLj3EEmmmmmmii, .Lfunc_end10-_ZL18solve_tri_f32_fastILi64ELi1EEvPKfS1_Pf15HIP_vector_typeIjLj3EEmmmmmmii
                                        ; -- End function
	.section	.AMDGPU.csdata,"",@progbits
; Kernel info:
; codeLenInByte = 19716
; NumSgprs: 100
; NumVgprs: 69
; NumAgprs: 0
; TotalNumVgprs: 69
; ScratchSize: 0
; MemoryBound: 0
; FloatMode: 240
; IeeeMode: 1
; LDSByteSize: 16384 bytes/workgroup (compile time only)
; SGPRBlocks: 12
; VGPRBlocks: 8
; NumSGPRsForWavesPerEU: 100
; NumVGPRsForWavesPerEU: 69
; AccumOffset: 72
; Occupancy: 7
; WaveLimiterHint : 1
; COMPUTE_PGM_RSRC2:SCRATCH_EN: 0
; COMPUTE_PGM_RSRC2:USER_SGPR: 6
; COMPUTE_PGM_RSRC2:TRAP_HANDLER: 0
; COMPUTE_PGM_RSRC2:TGID_X_EN: 1
; COMPUTE_PGM_RSRC2:TGID_Y_EN: 0
; COMPUTE_PGM_RSRC2:TGID_Z_EN: 0
; COMPUTE_PGM_RSRC2:TIDIG_COMP_CNT: 1
; COMPUTE_PGM_RSRC3_GFX90A:ACCUM_OFFSET: 17
; COMPUTE_PGM_RSRC3_GFX90A:TG_SPLIT: 0
	.section	.text._ZL18solve_tri_f32_fastILi0ELi0EEvPKfS1_Pf15HIP_vector_typeIjLj3EEmmmmmmii,"axG",@progbits,_ZL18solve_tri_f32_fastILi0ELi0EEvPKfS1_Pf15HIP_vector_typeIjLj3EEmmmmmmii,comdat
	.globl	_ZL18solve_tri_f32_fastILi0ELi0EEvPKfS1_Pf15HIP_vector_typeIjLj3EEmmmmmmii ; -- Begin function _ZL18solve_tri_f32_fastILi0ELi0EEvPKfS1_Pf15HIP_vector_typeIjLj3EEmmmmmmii
	.p2align	8
	.type	_ZL18solve_tri_f32_fastILi0ELi0EEvPKfS1_Pf15HIP_vector_typeIjLj3EEmmmmmmii,@function
_ZL18solve_tri_f32_fastILi0ELi0EEvPKfS1_Pf15HIP_vector_typeIjLj3EEmmmmmmii: ; @_ZL18solve_tri_f32_fastILi0ELi0EEvPKfS1_Pf15HIP_vector_typeIjLj3EEmmmmmmii
; %bb.0:
	s_load_dwordx2 s[20:21], s[4:5], 0x58
	v_bfe_u32 v2, v0, 10, 10
	s_waitcnt lgkmcnt(0)
	v_cmp_gt_i32_e32 vcc, s21, v2
	s_and_saveexec_b64 s[0:1], vcc
	s_cbranch_execz .LBB11_28
; %bb.1:
	s_load_dwordx4 s[24:27], s[4:5], 0x18
	s_load_dwordx2 s[0:1], s[4:5], 0x8
	s_load_dwordx8 s[8:15], s[4:5], 0x28
	s_load_dwordx4 s[16:19], s[4:5], 0x48
	v_and_b32_e32 v3, 0x3ff, v0
	s_waitcnt lgkmcnt(0)
	s_mul_hi_u32 s2, s24, s6
	s_add_i32 s2, s6, s2
	s_lshr_b32 s22, s2, s25
	s_mul_i32 s2, s22, s26
	s_sub_i32 s23, s6, s2
	s_cmp_eq_u32 s20, 0
	s_mov_b32 s6, 0
	s_cbranch_scc1 .LBB11_6
; %bb.2:
	s_load_dwordx2 s[2:3], s[4:5], 0x0
	s_load_dword s24, s[4:5], 0x6c
	s_mul_i32 s7, s23, s9
	s_mul_hi_u32 s9, s23, s8
	s_add_i32 s9, s9, s7
	s_mul_i32 s8, s23, s8
	s_lshl_b64 s[8:9], s[8:9], 2
	s_waitcnt lgkmcnt(0)
	s_add_u32 s7, s2, s8
	s_addc_u32 s8, s3, s9
	s_mul_i32 s2, s22, s11
	s_mul_hi_u32 s3, s22, s10
	s_add_i32 s3, s3, s2
	s_mul_i32 s2, s22, s10
	s_lshl_b64 s[2:3], s[2:3], 2
	s_add_u32 s7, s7, s2
	s_addc_u32 s8, s8, s3
	s_and_b32 s2, s24, 0xffff
	v_mad_u32_u24 v4, v2, s2, v3
	s_mul_i32 s9, s20, s20
	s_lshl_b32 s10, s21, 5
	v_lshlrev_b32_e32 v5, 2, v4
	s_lshl_b32 s11, s21, 7
	v_mov_b32_e32 v1, 0
	s_branch .LBB11_4
.LBB11_3:                               ;   in Loop: Header=BB11_4 Depth=1
	s_or_b64 exec, exec, s[2:3]
	s_add_i32 s6, s6, s10
	s_cmp_ge_i32 s6, s9
	v_add_u32_e32 v5, s11, v5
	s_cbranch_scc1 .LBB11_6
.LBB11_4:                               ; =>This Inner Loop Header: Depth=1
	v_add_u32_e32 v0, s6, v4
	v_cmp_gt_i32_e32 vcc, s9, v0
	s_and_saveexec_b64 s[2:3], vcc
	s_cbranch_execz .LBB11_3
; %bb.5:                                ;   in Loop: Header=BB11_4 Depth=1
	v_lshlrev_b64 v[6:7], 2, v[0:1]
	v_mov_b32_e32 v0, s8
	v_add_co_u32_e32 v6, vcc, s7, v6
	v_addc_co_u32_e32 v7, vcc, v0, v7, vcc
	global_load_dword v0, v[6:7], off
	s_waitcnt vmcnt(0)
	ds_write_b32 v5, v0
	s_branch .LBB11_3
.LBB11_6:
	s_mul_i32 s2, s23, s13
	s_mul_hi_u32 s3, s23, s12
	s_add_i32 s3, s3, s2
	s_mul_i32 s2, s23, s12
	s_lshl_b64 s[2:3], s[2:3], 2
	s_add_u32 s2, s0, s2
	s_addc_u32 s3, s1, s3
	s_mul_i32 s0, s22, s15
	s_mul_hi_u32 s1, s22, s14
	s_add_i32 s1, s1, s0
	s_mul_i32 s0, s22, s14
	s_lshl_b64 s[0:1], s[0:1], 2
	s_add_u32 s8, s2, s0
	s_addc_u32 s9, s3, s1
	v_cmp_gt_i32_e64 s[0:1], s20, v3
	v_mov_b32_e32 v0, 0
	v_mov_b32_e32 v4, 0
	s_waitcnt lgkmcnt(0)
	s_barrier
	s_and_saveexec_b64 s[2:3], s[0:1]
	s_cbranch_execz .LBB11_8
; %bb.7:
	v_mad_u64_u32 v[4:5], s[6:7], v3, s21, v[2:3]
	v_mov_b32_e32 v5, 0
	v_lshlrev_b64 v[4:5], 2, v[4:5]
	v_mov_b32_e32 v1, s9
	v_add_co_u32_e32 v4, vcc, s8, v4
	v_addc_co_u32_e32 v5, vcc, v1, v5, vcc
	global_load_dword v4, v[4:5], off
.LBB11_8:
	s_or_b64 exec, exec, s[2:3]
	v_add_u32_e32 v1, 32, v3
	v_cmp_gt_i32_e64 s[2:3], s20, v1
	s_and_saveexec_b64 s[6:7], s[2:3]
	s_cbranch_execz .LBB11_10
; %bb.9:
	v_mad_u64_u32 v[6:7], s[10:11], v1, s21, v[2:3]
	v_mov_b32_e32 v7, 0
	v_lshlrev_b64 v[6:7], 2, v[6:7]
	v_mov_b32_e32 v0, s9
	v_add_co_u32_e32 v6, vcc, s8, v6
	v_addc_co_u32_e32 v7, vcc, v0, v7, vcc
	global_load_dword v0, v[6:7], off
.LBB11_10:
	s_or_b64 exec, exec, s[6:7]
	s_load_dwordx2 s[4:5], s[4:5], 0x10
	s_cmp_lt_i32 s20, 1
	v_mbcnt_lo_u32_b32 v5, -1, 0
	s_cbranch_scc1 .LBB11_17
; %bb.11:
	v_mbcnt_hi_u32_b32 v10, -1, v5
	v_and_b32_e32 v6, 0x60, v10
	v_add_u32_e32 v11, 32, v6
	v_xor_b32_e32 v6, 16, v10
	v_cmp_lt_i32_e32 vcc, v6, v11
	v_xor_b32_e32 v7, 8, v10
	v_cndmask_b32_e32 v6, v10, v6, vcc
	v_cmp_lt_i32_e32 vcc, v7, v11
	v_xor_b32_e32 v8, 4, v10
	v_cndmask_b32_e32 v7, v10, v7, vcc
	;; [unrolled: 3-line block ×4, first 2 shown]
	v_cmp_lt_i32_e32 vcc, v12, v11
	v_cndmask_b32_e32 v10, v10, v12, vcc
	v_mul_lo_u32 v11, v3, s20
	s_min_i32 s8, s20, 32
	s_mov_b32 s9, 0
	v_lshlrev_b32_e32 v6, 2, v6
	v_lshlrev_b32_e32 v7, 2, v7
	;; [unrolled: 1-line block ×5, first 2 shown]
	v_add_lshl_u32 v11, v11, v3, 2
	v_lshlrev_b32_e32 v12, 2, v3
	s_lshl_b32 s10, s20, 2
	s_branch .LBB11_13
.LBB11_12:                              ;   in Loop: Header=BB11_13 Depth=1
	s_or_b64 exec, exec, s[6:7]
	s_add_i32 s9, s9, 1
	s_cmp_eq_u32 s8, s9
	v_add_u32_e32 v12, s10, v12
	s_cbranch_scc1 .LBB11_17
.LBB11_13:                              ; =>This Inner Loop Header: Depth=1
	v_cmp_gt_u32_e32 vcc, s9, v3
	v_mov_b32_e32 v13, 0
	s_and_saveexec_b64 s[6:7], vcc
	s_cbranch_execz .LBB11_15
; %bb.14:                               ;   in Loop: Header=BB11_13 Depth=1
	ds_read_b32 v13, v12
	s_waitcnt vmcnt(0) lgkmcnt(0)
	v_fma_f32 v13, v4, v13, 0
.LBB11_15:                              ;   in Loop: Header=BB11_13 Depth=1
	s_or_b64 exec, exec, s[6:7]
	s_waitcnt lgkmcnt(0)
	ds_bpermute_b32 v14, v6, v13
	v_cmp_eq_u32_e32 vcc, s9, v3
	s_waitcnt lgkmcnt(0)
	v_add_f32_e32 v13, v13, v14
	ds_bpermute_b32 v14, v7, v13
	s_waitcnt lgkmcnt(0)
	v_add_f32_e32 v13, v13, v14
	ds_bpermute_b32 v14, v8, v13
	;; [unrolled: 3-line block ×4, first 2 shown]
	s_and_saveexec_b64 s[6:7], vcc
	s_cbranch_execz .LBB11_12
; %bb.16:                               ;   in Loop: Header=BB11_13 Depth=1
	ds_read_b32 v15, v11
	s_waitcnt lgkmcnt(1)
	v_add_f32_e32 v13, v13, v14
	s_waitcnt vmcnt(0)
	v_sub_f32_e32 v4, v4, v13
	s_waitcnt lgkmcnt(0)
	v_div_scale_f32 v13, s[12:13], v15, v15, v4
	v_rcp_f32_e32 v14, v13
	v_div_scale_f32 v16, vcc, v4, v15, v4
	v_fma_f32 v17, -v13, v14, 1.0
	v_fmac_f32_e32 v14, v17, v14
	v_mul_f32_e32 v17, v16, v14
	v_fma_f32 v18, -v13, v17, v16
	v_fmac_f32_e32 v17, v18, v14
	v_fma_f32 v13, -v13, v17, v16
	v_div_fmas_f32 v13, v13, v14, v17
	v_div_fixup_f32 v4, v13, v15, v4
	s_branch .LBB11_12
.LBB11_17:
	s_cmp_lt_i32 s20, 33
	s_cbranch_scc1 .LBB11_24
; %bb.18:
	v_mbcnt_hi_u32_b32 v9, -1, v5
	v_and_b32_e32 v5, 0x60, v9
	v_add_u32_e32 v10, 32, v5
	v_xor_b32_e32 v5, 16, v9
	v_cmp_lt_i32_e32 vcc, v5, v10
	v_xor_b32_e32 v6, 8, v9
	v_cndmask_b32_e32 v5, v9, v5, vcc
	v_cmp_lt_i32_e32 vcc, v6, v10
	v_xor_b32_e32 v7, 4, v9
	v_cndmask_b32_e32 v6, v9, v6, vcc
	;; [unrolled: 3-line block ×4, first 2 shown]
	v_cmp_lt_i32_e32 vcc, v11, v10
	v_cndmask_b32_e32 v9, v9, v11, vcc
	s_lshl_b32 s6, s20, 7
	s_lshl_b32 s9, s20, 2
	s_mov_b32 s11, 32
	v_lshlrev_b32_e32 v5, 2, v5
	v_lshlrev_b32_e32 v6, 2, v6
	;; [unrolled: 1-line block ×5, first 2 shown]
	s_add_i32 s8, s6, 0x80
	s_add_i32 s10, s9, 4
	v_lshl_add_u32 v10, v3, 2, s6
	s_branch .LBB11_20
.LBB11_19:                              ;   in Loop: Header=BB11_20 Depth=1
	s_or_b64 exec, exec, s[6:7]
	s_add_i32 s8, s8, s10
	s_add_i32 s11, s11, 33
	s_cmp_eq_u32 s11, s20
	v_add_u32_e32 v10, s9, v10
	s_cbranch_scc1 .LBB11_24
.LBB11_20:                              ; =>This Inner Loop Header: Depth=1
	ds_read_b32 v11, v10
	v_cmp_gt_u32_e32 vcc, s11, v1
	s_waitcnt vmcnt(0) lgkmcnt(0)
	v_mul_f32_e32 v11, v4, v11
	s_and_saveexec_b64 s[6:7], vcc
	s_cbranch_execz .LBB11_22
; %bb.21:                               ;   in Loop: Header=BB11_20 Depth=1
	ds_read_b32 v12, v10 offset:128
	s_waitcnt lgkmcnt(0)
	v_fmac_f32_e32 v11, v0, v12
.LBB11_22:                              ;   in Loop: Header=BB11_20 Depth=1
	s_or_b64 exec, exec, s[6:7]
	ds_bpermute_b32 v12, v5, v11
	s_sub_i32 s11, s11, 32
	v_cmp_eq_u32_e32 vcc, s11, v3
	s_waitcnt lgkmcnt(0)
	v_add_f32_e32 v11, v11, v12
	ds_bpermute_b32 v12, v6, v11
	s_waitcnt lgkmcnt(0)
	v_add_f32_e32 v11, v11, v12
	ds_bpermute_b32 v12, v7, v11
	;; [unrolled: 3-line block ×4, first 2 shown]
	s_and_saveexec_b64 s[6:7], vcc
	s_cbranch_execz .LBB11_19
; %bb.23:                               ;   in Loop: Header=BB11_20 Depth=1
	v_mov_b32_e32 v13, s8
	ds_read_b32 v13, v13
	s_waitcnt lgkmcnt(1)
	v_add_f32_e32 v11, v11, v12
	v_sub_f32_e32 v0, v0, v11
	s_waitcnt lgkmcnt(0)
	v_div_scale_f32 v11, s[12:13], v13, v13, v0
	v_rcp_f32_e32 v12, v11
	v_div_scale_f32 v14, vcc, v0, v13, v0
	v_fma_f32 v15, -v11, v12, 1.0
	v_fmac_f32_e32 v12, v15, v12
	v_mul_f32_e32 v15, v14, v12
	v_fma_f32 v16, -v11, v15, v14
	v_fmac_f32_e32 v15, v16, v12
	v_fma_f32 v11, -v11, v15, v14
	v_div_fmas_f32 v11, v11, v12, v15
	v_div_fixup_f32 v0, v11, v13, v0
	s_branch .LBB11_19
.LBB11_24:
	s_mul_i32 s6, s23, s17
	s_mul_hi_u32 s7, s23, s16
	s_add_i32 s7, s7, s6
	s_mul_i32 s6, s23, s16
	s_lshl_b64 s[6:7], s[6:7], 2
	s_waitcnt lgkmcnt(0)
	s_add_u32 s6, s4, s6
	s_addc_u32 s7, s5, s7
	s_mul_i32 s4, s22, s19
	s_mul_hi_u32 s5, s22, s18
	s_add_i32 s5, s5, s4
	s_mul_i32 s4, s22, s18
	s_lshl_b64 s[4:5], s[4:5], 2
	s_add_u32 s6, s6, s4
	s_addc_u32 s7, s7, s5
	s_and_saveexec_b64 s[4:5], s[0:1]
	s_cbranch_execz .LBB11_26
; %bb.25:
	v_cmp_gt_u32_e32 vcc, 32, v3
	s_waitcnt vmcnt(0)
	v_cndmask_b32_e32 v6, v0, v4, vcc
	v_mad_u64_u32 v[4:5], s[0:1], v3, s21, v[2:3]
	v_mov_b32_e32 v5, 0
	v_lshlrev_b64 v[4:5], 2, v[4:5]
	v_mov_b32_e32 v3, s7
	v_add_co_u32_e32 v4, vcc, s6, v4
	v_addc_co_u32_e32 v5, vcc, v3, v5, vcc
	global_store_dword v[4:5], v6, off
.LBB11_26:
	s_or_b64 exec, exec, s[4:5]
	s_and_b64 exec, exec, s[2:3]
	s_cbranch_execz .LBB11_28
; %bb.27:
	v_mad_u64_u32 v[2:3], s[0:1], v1, s21, v[2:3]
	v_mov_b32_e32 v3, 0
	v_lshlrev_b64 v[2:3], 2, v[2:3]
	v_mov_b32_e32 v1, s7
	v_add_co_u32_e32 v2, vcc, s6, v2
	v_addc_co_u32_e32 v3, vcc, v1, v3, vcc
	s_waitcnt vmcnt(0)
	global_store_dword v[2:3], v0, off
.LBB11_28:
	s_endpgm
	.section	.rodata,"a",@progbits
	.p2align	6, 0x0
	.amdhsa_kernel _ZL18solve_tri_f32_fastILi0ELi0EEvPKfS1_Pf15HIP_vector_typeIjLj3EEmmmmmmii
		.amdhsa_group_segment_fixed_size 16384
		.amdhsa_private_segment_fixed_size 0
		.amdhsa_kernarg_size 352
		.amdhsa_user_sgpr_count 6
		.amdhsa_user_sgpr_private_segment_buffer 1
		.amdhsa_user_sgpr_dispatch_ptr 0
		.amdhsa_user_sgpr_queue_ptr 0
		.amdhsa_user_sgpr_kernarg_segment_ptr 1
		.amdhsa_user_sgpr_dispatch_id 0
		.amdhsa_user_sgpr_flat_scratch_init 0
		.amdhsa_user_sgpr_kernarg_preload_length 0
		.amdhsa_user_sgpr_kernarg_preload_offset 0
		.amdhsa_user_sgpr_private_segment_size 0
		.amdhsa_uses_dynamic_stack 0
		.amdhsa_system_sgpr_private_segment_wavefront_offset 0
		.amdhsa_system_sgpr_workgroup_id_x 1
		.amdhsa_system_sgpr_workgroup_id_y 0
		.amdhsa_system_sgpr_workgroup_id_z 0
		.amdhsa_system_sgpr_workgroup_info 0
		.amdhsa_system_vgpr_workitem_id 1
		.amdhsa_next_free_vgpr 19
		.amdhsa_next_free_sgpr 28
		.amdhsa_accum_offset 20
		.amdhsa_reserve_vcc 1
		.amdhsa_reserve_flat_scratch 0
		.amdhsa_float_round_mode_32 0
		.amdhsa_float_round_mode_16_64 0
		.amdhsa_float_denorm_mode_32 3
		.amdhsa_float_denorm_mode_16_64 3
		.amdhsa_dx10_clamp 1
		.amdhsa_ieee_mode 1
		.amdhsa_fp16_overflow 0
		.amdhsa_tg_split 0
		.amdhsa_exception_fp_ieee_invalid_op 0
		.amdhsa_exception_fp_denorm_src 0
		.amdhsa_exception_fp_ieee_div_zero 0
		.amdhsa_exception_fp_ieee_overflow 0
		.amdhsa_exception_fp_ieee_underflow 0
		.amdhsa_exception_fp_ieee_inexact 0
		.amdhsa_exception_int_div_zero 0
	.end_amdhsa_kernel
	.section	.text._ZL18solve_tri_f32_fastILi0ELi0EEvPKfS1_Pf15HIP_vector_typeIjLj3EEmmmmmmii,"axG",@progbits,_ZL18solve_tri_f32_fastILi0ELi0EEvPKfS1_Pf15HIP_vector_typeIjLj3EEmmmmmmii,comdat
.Lfunc_end11:
	.size	_ZL18solve_tri_f32_fastILi0ELi0EEvPKfS1_Pf15HIP_vector_typeIjLj3EEmmmmmmii, .Lfunc_end11-_ZL18solve_tri_f32_fastILi0ELi0EEvPKfS1_Pf15HIP_vector_typeIjLj3EEmmmmmmii
                                        ; -- End function
	.section	.AMDGPU.csdata,"",@progbits
; Kernel info:
; codeLenInByte = 1500
; NumSgprs: 32
; NumVgprs: 19
; NumAgprs: 0
; TotalNumVgprs: 19
; ScratchSize: 0
; MemoryBound: 0
; FloatMode: 240
; IeeeMode: 1
; LDSByteSize: 16384 bytes/workgroup (compile time only)
; SGPRBlocks: 3
; VGPRBlocks: 2
; NumSGPRsForWavesPerEU: 32
; NumVGPRsForWavesPerEU: 19
; AccumOffset: 20
; Occupancy: 8
; WaveLimiterHint : 0
; COMPUTE_PGM_RSRC2:SCRATCH_EN: 0
; COMPUTE_PGM_RSRC2:USER_SGPR: 6
; COMPUTE_PGM_RSRC2:TRAP_HANDLER: 0
; COMPUTE_PGM_RSRC2:TGID_X_EN: 1
; COMPUTE_PGM_RSRC2:TGID_Y_EN: 0
; COMPUTE_PGM_RSRC2:TGID_Z_EN: 0
; COMPUTE_PGM_RSRC2:TIDIG_COMP_CNT: 1
; COMPUTE_PGM_RSRC3_GFX90A:ACCUM_OFFSET: 4
; COMPUTE_PGM_RSRC3_GFX90A:TG_SPLIT: 0
	.text
	.p2alignl 6, 3212836864
	.fill 256, 4, 3212836864
	.type	__hip_cuid_c5fd308cf88bcf9,@object ; @__hip_cuid_c5fd308cf88bcf9
	.section	.bss,"aw",@nobits
	.globl	__hip_cuid_c5fd308cf88bcf9
__hip_cuid_c5fd308cf88bcf9:
	.byte	0                               ; 0x0
	.size	__hip_cuid_c5fd308cf88bcf9, 1

	.ident	"AMD clang version 19.0.0git (https://github.com/RadeonOpenCompute/llvm-project roc-6.4.0 25133 c7fe45cf4b819c5991fe208aaa96edf142730f1d)"
	.section	".note.GNU-stack","",@progbits
	.addrsig
	.addrsig_sym __hip_cuid_c5fd308cf88bcf9
	.amdgpu_metadata
---
amdhsa.kernels:
  - .agpr_count:     0
    .args:
      - .address_space:  global
        .offset:         0
        .size:           8
        .value_kind:     global_buffer
      - .address_space:  global
        .offset:         8
        .size:           8
        .value_kind:     global_buffer
      - .address_space:  global
        .offset:         16
        .size:           8
        .value_kind:     global_buffer
      - .address_space:  global
        .offset:         24
        .size:           8
        .value_kind:     global_buffer
      - .offset:         32
        .size:           8
        .value_kind:     by_value
      - .offset:         40
        .size:           8
        .value_kind:     by_value
      - .offset:         48
        .size:           8
        .value_kind:     by_value
      - .offset:         56
        .size:           8
        .value_kind:     by_value
      - .offset:         64
        .size:           8
        .value_kind:     by_value
      - .offset:         72
        .size:           8
        .value_kind:     by_value
      - .offset:         80
        .size:           4
        .value_kind:     hidden_block_count_x
      - .offset:         84
        .size:           4
        .value_kind:     hidden_block_count_y
      - .offset:         88
        .size:           4
        .value_kind:     hidden_block_count_z
      - .offset:         92
        .size:           2
        .value_kind:     hidden_group_size_x
      - .offset:         94
        .size:           2
        .value_kind:     hidden_group_size_y
      - .offset:         96
        .size:           2
        .value_kind:     hidden_group_size_z
      - .offset:         98
        .size:           2
        .value_kind:     hidden_remainder_x
      - .offset:         100
        .size:           2
        .value_kind:     hidden_remainder_y
      - .offset:         102
        .size:           2
        .value_kind:     hidden_remainder_z
      - .offset:         120
        .size:           8
        .value_kind:     hidden_global_offset_x
      - .offset:         128
        .size:           8
        .value_kind:     hidden_global_offset_y
      - .offset:         136
        .size:           8
        .value_kind:     hidden_global_offset_z
      - .offset:         144
        .size:           2
        .value_kind:     hidden_grid_dims
    .group_segment_fixed_size: 0
    .kernarg_segment_align: 8
    .kernarg_segment_size: 336
    .language:       OpenCL C
    .language_version:
      - 2
      - 0
    .max_flat_workgroup_size: 1024
    .name:           _ZL18get_batch_pointersPKfPfPS0_PS1_llmmmm
    .private_segment_fixed_size: 0
    .sgpr_count:     28
    .sgpr_spill_count: 0
    .symbol:         _ZL18get_batch_pointersPKfPfPS0_PS1_llmmmm.kd
    .uniform_work_group_size: 1
    .uses_dynamic_stack: false
    .vgpr_count:     13
    .vgpr_spill_count: 0
    .wavefront_size: 64
  - .agpr_count:     0
    .args:
      - .actual_access:  read_only
        .address_space:  global
        .offset:         0
        .size:           8
        .value_kind:     global_buffer
      - .actual_access:  read_only
        .address_space:  global
        .offset:         8
        .size:           8
        .value_kind:     global_buffer
      - .actual_access:  write_only
        .address_space:  global
        .offset:         16
        .size:           8
        .value_kind:     global_buffer
      - .offset:         24
        .size:           12
        .value_kind:     by_value
      - .offset:         40
        .size:           8
        .value_kind:     by_value
      - .offset:         48
        .size:           8
        .value_kind:     by_value
      - .offset:         56
        .size:           8
        .value_kind:     by_value
      - .offset:         64
        .size:           8
        .value_kind:     by_value
      - .offset:         72
        .size:           8
        .value_kind:     by_value
      - .offset:         80
        .size:           8
        .value_kind:     by_value
      - .offset:         88
        .size:           4
        .value_kind:     by_value
      - .offset:         92
        .size:           4
        .value_kind:     by_value
      - .offset:         96
        .size:           4
        .value_kind:     hidden_block_count_x
      - .offset:         100
        .size:           4
        .value_kind:     hidden_block_count_y
      - .offset:         104
        .size:           4
        .value_kind:     hidden_block_count_z
      - .offset:         108
        .size:           2
        .value_kind:     hidden_group_size_x
      - .offset:         110
        .size:           2
        .value_kind:     hidden_group_size_y
      - .offset:         112
        .size:           2
        .value_kind:     hidden_group_size_z
      - .offset:         114
        .size:           2
        .value_kind:     hidden_remainder_x
      - .offset:         116
        .size:           2
        .value_kind:     hidden_remainder_y
      - .offset:         118
        .size:           2
        .value_kind:     hidden_remainder_z
      - .offset:         136
        .size:           8
        .value_kind:     hidden_global_offset_x
      - .offset:         144
        .size:           8
        .value_kind:     hidden_global_offset_y
      - .offset:         152
        .size:           8
        .value_kind:     hidden_global_offset_z
      - .offset:         160
        .size:           2
        .value_kind:     hidden_grid_dims
    .group_segment_fixed_size: 16384
    .kernarg_segment_align: 8
    .kernarg_segment_size: 352
    .language:       OpenCL C
    .language_version:
      - 2
      - 0
    .max_flat_workgroup_size: 1024
    .name:           _ZL18solve_tri_f32_fastILi64ELi32EEvPKfS1_Pf15HIP_vector_typeIjLj3EEmmmmmmii
    .private_segment_fixed_size: 0
    .sgpr_count:     100
    .sgpr_spill_count: 44
    .symbol:         _ZL18solve_tri_f32_fastILi64ELi32EEvPKfS1_Pf15HIP_vector_typeIjLj3EEmmmmmmii.kd
    .uniform_work_group_size: 1
    .uses_dynamic_stack: false
    .vgpr_count:     18
    .vgpr_spill_count: 0
    .wavefront_size: 64
  - .agpr_count:     0
    .args:
      - .actual_access:  read_only
        .address_space:  global
        .offset:         0
        .size:           8
        .value_kind:     global_buffer
      - .actual_access:  read_only
        .address_space:  global
        .offset:         8
        .size:           8
        .value_kind:     global_buffer
      - .actual_access:  write_only
        .address_space:  global
        .offset:         16
        .size:           8
        .value_kind:     global_buffer
      - .offset:         24
        .size:           12
        .value_kind:     by_value
      - .offset:         40
        .size:           8
        .value_kind:     by_value
      - .offset:         48
        .size:           8
        .value_kind:     by_value
      - .offset:         56
        .size:           8
        .value_kind:     by_value
      - .offset:         64
        .size:           8
        .value_kind:     by_value
      - .offset:         72
        .size:           8
        .value_kind:     by_value
      - .offset:         80
        .size:           8
        .value_kind:     by_value
      - .offset:         88
        .size:           4
        .value_kind:     by_value
      - .offset:         92
        .size:           4
        .value_kind:     by_value
      - .offset:         96
        .size:           4
        .value_kind:     hidden_block_count_x
      - .offset:         100
        .size:           4
        .value_kind:     hidden_block_count_y
      - .offset:         104
        .size:           4
        .value_kind:     hidden_block_count_z
      - .offset:         108
        .size:           2
        .value_kind:     hidden_group_size_x
      - .offset:         110
        .size:           2
        .value_kind:     hidden_group_size_y
      - .offset:         112
        .size:           2
        .value_kind:     hidden_group_size_z
      - .offset:         114
        .size:           2
        .value_kind:     hidden_remainder_x
      - .offset:         116
        .size:           2
        .value_kind:     hidden_remainder_y
      - .offset:         118
        .size:           2
        .value_kind:     hidden_remainder_z
      - .offset:         136
        .size:           8
        .value_kind:     hidden_global_offset_x
      - .offset:         144
        .size:           8
        .value_kind:     hidden_global_offset_y
      - .offset:         152
        .size:           8
        .value_kind:     hidden_global_offset_z
      - .offset:         160
        .size:           2
        .value_kind:     hidden_grid_dims
    .group_segment_fixed_size: 16384
    .kernarg_segment_align: 8
    .kernarg_segment_size: 352
    .language:       OpenCL C
    .language_version:
      - 2
      - 0
    .max_flat_workgroup_size: 1024
    .name:           _ZL18solve_tri_f32_fastILi64ELi16EEvPKfS1_Pf15HIP_vector_typeIjLj3EEmmmmmmii
    .private_segment_fixed_size: 0
    .sgpr_count:     100
    .sgpr_spill_count: 44
    .symbol:         _ZL18solve_tri_f32_fastILi64ELi16EEvPKfS1_Pf15HIP_vector_typeIjLj3EEmmmmmmii.kd
    .uniform_work_group_size: 1
    .uses_dynamic_stack: false
    .vgpr_count:     18
    .vgpr_spill_count: 0
    .wavefront_size: 64
  - .agpr_count:     0
    .args:
      - .actual_access:  read_only
        .address_space:  global
        .offset:         0
        .size:           8
        .value_kind:     global_buffer
      - .actual_access:  read_only
        .address_space:  global
        .offset:         8
        .size:           8
        .value_kind:     global_buffer
      - .actual_access:  write_only
        .address_space:  global
        .offset:         16
        .size:           8
        .value_kind:     global_buffer
      - .offset:         24
        .size:           12
        .value_kind:     by_value
      - .offset:         40
        .size:           8
        .value_kind:     by_value
      - .offset:         48
        .size:           8
        .value_kind:     by_value
      - .offset:         56
        .size:           8
        .value_kind:     by_value
      - .offset:         64
        .size:           8
        .value_kind:     by_value
      - .offset:         72
        .size:           8
        .value_kind:     by_value
      - .offset:         80
        .size:           8
        .value_kind:     by_value
      - .offset:         88
        .size:           4
        .value_kind:     by_value
      - .offset:         92
        .size:           4
        .value_kind:     by_value
      - .offset:         96
        .size:           4
        .value_kind:     hidden_block_count_x
      - .offset:         100
        .size:           4
        .value_kind:     hidden_block_count_y
      - .offset:         104
        .size:           4
        .value_kind:     hidden_block_count_z
      - .offset:         108
        .size:           2
        .value_kind:     hidden_group_size_x
      - .offset:         110
        .size:           2
        .value_kind:     hidden_group_size_y
      - .offset:         112
        .size:           2
        .value_kind:     hidden_group_size_z
      - .offset:         114
        .size:           2
        .value_kind:     hidden_remainder_x
      - .offset:         116
        .size:           2
        .value_kind:     hidden_remainder_y
      - .offset:         118
        .size:           2
        .value_kind:     hidden_remainder_z
      - .offset:         136
        .size:           8
        .value_kind:     hidden_global_offset_x
      - .offset:         144
        .size:           8
        .value_kind:     hidden_global_offset_y
      - .offset:         152
        .size:           8
        .value_kind:     hidden_global_offset_z
      - .offset:         160
        .size:           2
        .value_kind:     hidden_grid_dims
    .group_segment_fixed_size: 16384
    .kernarg_segment_align: 8
    .kernarg_segment_size: 352
    .language:       OpenCL C
    .language_version:
      - 2
      - 0
    .max_flat_workgroup_size: 1024
    .name:           _ZL18solve_tri_f32_fastILi64ELi14EEvPKfS1_Pf15HIP_vector_typeIjLj3EEmmmmmmii
    .private_segment_fixed_size: 0
    .sgpr_count:     100
    .sgpr_spill_count: 44
    .symbol:         _ZL18solve_tri_f32_fastILi64ELi14EEvPKfS1_Pf15HIP_vector_typeIjLj3EEmmmmmmii.kd
    .uniform_work_group_size: 1
    .uses_dynamic_stack: false
    .vgpr_count:     19
    .vgpr_spill_count: 0
    .wavefront_size: 64
  - .agpr_count:     0
    .args:
      - .actual_access:  read_only
        .address_space:  global
        .offset:         0
        .size:           8
        .value_kind:     global_buffer
      - .actual_access:  read_only
        .address_space:  global
        .offset:         8
        .size:           8
        .value_kind:     global_buffer
      - .actual_access:  write_only
        .address_space:  global
        .offset:         16
        .size:           8
        .value_kind:     global_buffer
      - .offset:         24
        .size:           12
        .value_kind:     by_value
      - .offset:         40
        .size:           8
        .value_kind:     by_value
      - .offset:         48
        .size:           8
        .value_kind:     by_value
      - .offset:         56
        .size:           8
        .value_kind:     by_value
      - .offset:         64
        .size:           8
        .value_kind:     by_value
      - .offset:         72
        .size:           8
        .value_kind:     by_value
      - .offset:         80
        .size:           8
        .value_kind:     by_value
      - .offset:         88
        .size:           4
        .value_kind:     by_value
      - .offset:         92
        .size:           4
        .value_kind:     by_value
      - .offset:         96
        .size:           4
        .value_kind:     hidden_block_count_x
      - .offset:         100
        .size:           4
        .value_kind:     hidden_block_count_y
      - .offset:         104
        .size:           4
        .value_kind:     hidden_block_count_z
      - .offset:         108
        .size:           2
        .value_kind:     hidden_group_size_x
      - .offset:         110
        .size:           2
        .value_kind:     hidden_group_size_y
      - .offset:         112
        .size:           2
        .value_kind:     hidden_group_size_z
      - .offset:         114
        .size:           2
        .value_kind:     hidden_remainder_x
      - .offset:         116
        .size:           2
        .value_kind:     hidden_remainder_y
      - .offset:         118
        .size:           2
        .value_kind:     hidden_remainder_z
      - .offset:         136
        .size:           8
        .value_kind:     hidden_global_offset_x
      - .offset:         144
        .size:           8
        .value_kind:     hidden_global_offset_y
      - .offset:         152
        .size:           8
        .value_kind:     hidden_global_offset_z
      - .offset:         160
        .size:           2
        .value_kind:     hidden_grid_dims
    .group_segment_fixed_size: 16384
    .kernarg_segment_align: 8
    .kernarg_segment_size: 352
    .language:       OpenCL C
    .language_version:
      - 2
      - 0
    .max_flat_workgroup_size: 1024
    .name:           _ZL18solve_tri_f32_fastILi64ELi12EEvPKfS1_Pf15HIP_vector_typeIjLj3EEmmmmmmii
    .private_segment_fixed_size: 0
    .sgpr_count:     100
    .sgpr_spill_count: 44
    .symbol:         _ZL18solve_tri_f32_fastILi64ELi12EEvPKfS1_Pf15HIP_vector_typeIjLj3EEmmmmmmii.kd
    .uniform_work_group_size: 1
    .uses_dynamic_stack: false
    .vgpr_count:     19
    .vgpr_spill_count: 0
    .wavefront_size: 64
  - .agpr_count:     0
    .args:
      - .actual_access:  read_only
        .address_space:  global
        .offset:         0
        .size:           8
        .value_kind:     global_buffer
      - .actual_access:  read_only
        .address_space:  global
        .offset:         8
        .size:           8
        .value_kind:     global_buffer
      - .actual_access:  write_only
        .address_space:  global
        .offset:         16
        .size:           8
        .value_kind:     global_buffer
      - .offset:         24
        .size:           12
        .value_kind:     by_value
      - .offset:         40
        .size:           8
        .value_kind:     by_value
      - .offset:         48
        .size:           8
        .value_kind:     by_value
      - .offset:         56
        .size:           8
        .value_kind:     by_value
      - .offset:         64
        .size:           8
        .value_kind:     by_value
      - .offset:         72
        .size:           8
        .value_kind:     by_value
      - .offset:         80
        .size:           8
        .value_kind:     by_value
      - .offset:         88
        .size:           4
        .value_kind:     by_value
      - .offset:         92
        .size:           4
        .value_kind:     by_value
      - .offset:         96
        .size:           4
        .value_kind:     hidden_block_count_x
      - .offset:         100
        .size:           4
        .value_kind:     hidden_block_count_y
      - .offset:         104
        .size:           4
        .value_kind:     hidden_block_count_z
      - .offset:         108
        .size:           2
        .value_kind:     hidden_group_size_x
      - .offset:         110
        .size:           2
        .value_kind:     hidden_group_size_y
      - .offset:         112
        .size:           2
        .value_kind:     hidden_group_size_z
      - .offset:         114
        .size:           2
        .value_kind:     hidden_remainder_x
      - .offset:         116
        .size:           2
        .value_kind:     hidden_remainder_y
      - .offset:         118
        .size:           2
        .value_kind:     hidden_remainder_z
      - .offset:         136
        .size:           8
        .value_kind:     hidden_global_offset_x
      - .offset:         144
        .size:           8
        .value_kind:     hidden_global_offset_y
      - .offset:         152
        .size:           8
        .value_kind:     hidden_global_offset_z
      - .offset:         160
        .size:           2
        .value_kind:     hidden_grid_dims
    .group_segment_fixed_size: 16384
    .kernarg_segment_align: 8
    .kernarg_segment_size: 352
    .language:       OpenCL C
    .language_version:
      - 2
      - 0
    .max_flat_workgroup_size: 1024
    .name:           _ZL18solve_tri_f32_fastILi64ELi10EEvPKfS1_Pf15HIP_vector_typeIjLj3EEmmmmmmii
    .private_segment_fixed_size: 0
    .sgpr_count:     100
    .sgpr_spill_count: 44
    .symbol:         _ZL18solve_tri_f32_fastILi64ELi10EEvPKfS1_Pf15HIP_vector_typeIjLj3EEmmmmmmii.kd
    .uniform_work_group_size: 1
    .uses_dynamic_stack: false
    .vgpr_count:     19
    .vgpr_spill_count: 0
    .wavefront_size: 64
  - .agpr_count:     0
    .args:
      - .actual_access:  read_only
        .address_space:  global
        .offset:         0
        .size:           8
        .value_kind:     global_buffer
      - .actual_access:  read_only
        .address_space:  global
        .offset:         8
        .size:           8
        .value_kind:     global_buffer
      - .actual_access:  write_only
        .address_space:  global
        .offset:         16
        .size:           8
        .value_kind:     global_buffer
      - .offset:         24
        .size:           12
        .value_kind:     by_value
      - .offset:         40
        .size:           8
        .value_kind:     by_value
      - .offset:         48
        .size:           8
        .value_kind:     by_value
      - .offset:         56
        .size:           8
        .value_kind:     by_value
      - .offset:         64
        .size:           8
        .value_kind:     by_value
      - .offset:         72
        .size:           8
        .value_kind:     by_value
      - .offset:         80
        .size:           8
        .value_kind:     by_value
      - .offset:         88
        .size:           4
        .value_kind:     by_value
      - .offset:         92
        .size:           4
        .value_kind:     by_value
      - .offset:         96
        .size:           4
        .value_kind:     hidden_block_count_x
      - .offset:         100
        .size:           4
        .value_kind:     hidden_block_count_y
      - .offset:         104
        .size:           4
        .value_kind:     hidden_block_count_z
      - .offset:         108
        .size:           2
        .value_kind:     hidden_group_size_x
      - .offset:         110
        .size:           2
        .value_kind:     hidden_group_size_y
      - .offset:         112
        .size:           2
        .value_kind:     hidden_group_size_z
      - .offset:         114
        .size:           2
        .value_kind:     hidden_remainder_x
      - .offset:         116
        .size:           2
        .value_kind:     hidden_remainder_y
      - .offset:         118
        .size:           2
        .value_kind:     hidden_remainder_z
      - .offset:         136
        .size:           8
        .value_kind:     hidden_global_offset_x
      - .offset:         144
        .size:           8
        .value_kind:     hidden_global_offset_y
      - .offset:         152
        .size:           8
        .value_kind:     hidden_global_offset_z
      - .offset:         160
        .size:           2
        .value_kind:     hidden_grid_dims
    .group_segment_fixed_size: 16384
    .kernarg_segment_align: 8
    .kernarg_segment_size: 352
    .language:       OpenCL C
    .language_version:
      - 2
      - 0
    .max_flat_workgroup_size: 1024
    .name:           _ZL18solve_tri_f32_fastILi64ELi8EEvPKfS1_Pf15HIP_vector_typeIjLj3EEmmmmmmii
    .private_segment_fixed_size: 0
    .sgpr_count:     100
    .sgpr_spill_count: 44
    .symbol:         _ZL18solve_tri_f32_fastILi64ELi8EEvPKfS1_Pf15HIP_vector_typeIjLj3EEmmmmmmii.kd
    .uniform_work_group_size: 1
    .uses_dynamic_stack: false
    .vgpr_count:     18
    .vgpr_spill_count: 0
    .wavefront_size: 64
  - .agpr_count:     0
    .args:
      - .actual_access:  read_only
        .address_space:  global
        .offset:         0
        .size:           8
        .value_kind:     global_buffer
      - .actual_access:  read_only
        .address_space:  global
        .offset:         8
        .size:           8
        .value_kind:     global_buffer
      - .actual_access:  write_only
        .address_space:  global
        .offset:         16
        .size:           8
        .value_kind:     global_buffer
      - .offset:         24
        .size:           12
        .value_kind:     by_value
      - .offset:         40
        .size:           8
        .value_kind:     by_value
      - .offset:         48
        .size:           8
        .value_kind:     by_value
      - .offset:         56
        .size:           8
        .value_kind:     by_value
      - .offset:         64
        .size:           8
        .value_kind:     by_value
      - .offset:         72
        .size:           8
        .value_kind:     by_value
      - .offset:         80
        .size:           8
        .value_kind:     by_value
      - .offset:         88
        .size:           4
        .value_kind:     by_value
      - .offset:         92
        .size:           4
        .value_kind:     by_value
      - .offset:         96
        .size:           4
        .value_kind:     hidden_block_count_x
      - .offset:         100
        .size:           4
        .value_kind:     hidden_block_count_y
      - .offset:         104
        .size:           4
        .value_kind:     hidden_block_count_z
      - .offset:         108
        .size:           2
        .value_kind:     hidden_group_size_x
      - .offset:         110
        .size:           2
        .value_kind:     hidden_group_size_y
      - .offset:         112
        .size:           2
        .value_kind:     hidden_group_size_z
      - .offset:         114
        .size:           2
        .value_kind:     hidden_remainder_x
      - .offset:         116
        .size:           2
        .value_kind:     hidden_remainder_y
      - .offset:         118
        .size:           2
        .value_kind:     hidden_remainder_z
      - .offset:         136
        .size:           8
        .value_kind:     hidden_global_offset_x
      - .offset:         144
        .size:           8
        .value_kind:     hidden_global_offset_y
      - .offset:         152
        .size:           8
        .value_kind:     hidden_global_offset_z
      - .offset:         160
        .size:           2
        .value_kind:     hidden_grid_dims
    .group_segment_fixed_size: 16384
    .kernarg_segment_align: 8
    .kernarg_segment_size: 352
    .language:       OpenCL C
    .language_version:
      - 2
      - 0
    .max_flat_workgroup_size: 1024
    .name:           _ZL18solve_tri_f32_fastILi64ELi6EEvPKfS1_Pf15HIP_vector_typeIjLj3EEmmmmmmii
    .private_segment_fixed_size: 0
    .sgpr_count:     100
    .sgpr_spill_count: 44
    .symbol:         _ZL18solve_tri_f32_fastILi64ELi6EEvPKfS1_Pf15HIP_vector_typeIjLj3EEmmmmmmii.kd
    .uniform_work_group_size: 1
    .uses_dynamic_stack: false
    .vgpr_count:     19
    .vgpr_spill_count: 0
    .wavefront_size: 64
  - .agpr_count:     0
    .args:
      - .actual_access:  read_only
        .address_space:  global
        .offset:         0
        .size:           8
        .value_kind:     global_buffer
      - .actual_access:  read_only
        .address_space:  global
        .offset:         8
        .size:           8
        .value_kind:     global_buffer
      - .actual_access:  write_only
        .address_space:  global
        .offset:         16
        .size:           8
        .value_kind:     global_buffer
      - .offset:         24
        .size:           12
        .value_kind:     by_value
      - .offset:         40
        .size:           8
        .value_kind:     by_value
      - .offset:         48
        .size:           8
        .value_kind:     by_value
      - .offset:         56
        .size:           8
        .value_kind:     by_value
      - .offset:         64
        .size:           8
        .value_kind:     by_value
      - .offset:         72
        .size:           8
        .value_kind:     by_value
      - .offset:         80
        .size:           8
        .value_kind:     by_value
      - .offset:         88
        .size:           4
        .value_kind:     by_value
      - .offset:         92
        .size:           4
        .value_kind:     by_value
      - .offset:         96
        .size:           4
        .value_kind:     hidden_block_count_x
      - .offset:         100
        .size:           4
        .value_kind:     hidden_block_count_y
      - .offset:         104
        .size:           4
        .value_kind:     hidden_block_count_z
      - .offset:         108
        .size:           2
        .value_kind:     hidden_group_size_x
      - .offset:         110
        .size:           2
        .value_kind:     hidden_group_size_y
      - .offset:         112
        .size:           2
        .value_kind:     hidden_group_size_z
      - .offset:         114
        .size:           2
        .value_kind:     hidden_remainder_x
      - .offset:         116
        .size:           2
        .value_kind:     hidden_remainder_y
      - .offset:         118
        .size:           2
        .value_kind:     hidden_remainder_z
      - .offset:         136
        .size:           8
        .value_kind:     hidden_global_offset_x
      - .offset:         144
        .size:           8
        .value_kind:     hidden_global_offset_y
      - .offset:         152
        .size:           8
        .value_kind:     hidden_global_offset_z
      - .offset:         160
        .size:           2
        .value_kind:     hidden_grid_dims
    .group_segment_fixed_size: 16384
    .kernarg_segment_align: 8
    .kernarg_segment_size: 352
    .language:       OpenCL C
    .language_version:
      - 2
      - 0
    .max_flat_workgroup_size: 1024
    .name:           _ZL18solve_tri_f32_fastILi64ELi4EEvPKfS1_Pf15HIP_vector_typeIjLj3EEmmmmmmii
    .private_segment_fixed_size: 0
    .sgpr_count:     100
    .sgpr_spill_count: 44
    .symbol:         _ZL18solve_tri_f32_fastILi64ELi4EEvPKfS1_Pf15HIP_vector_typeIjLj3EEmmmmmmii.kd
    .uniform_work_group_size: 1
    .uses_dynamic_stack: false
    .vgpr_count:     18
    .vgpr_spill_count: 0
    .wavefront_size: 64
  - .agpr_count:     0
    .args:
      - .actual_access:  read_only
        .address_space:  global
        .offset:         0
        .size:           8
        .value_kind:     global_buffer
      - .actual_access:  read_only
        .address_space:  global
        .offset:         8
        .size:           8
        .value_kind:     global_buffer
      - .actual_access:  write_only
        .address_space:  global
        .offset:         16
        .size:           8
        .value_kind:     global_buffer
      - .offset:         24
        .size:           12
        .value_kind:     by_value
      - .offset:         40
        .size:           8
        .value_kind:     by_value
      - .offset:         48
        .size:           8
        .value_kind:     by_value
      - .offset:         56
        .size:           8
        .value_kind:     by_value
      - .offset:         64
        .size:           8
        .value_kind:     by_value
      - .offset:         72
        .size:           8
        .value_kind:     by_value
      - .offset:         80
        .size:           8
        .value_kind:     by_value
      - .offset:         88
        .size:           4
        .value_kind:     by_value
      - .offset:         92
        .size:           4
        .value_kind:     by_value
      - .offset:         96
        .size:           4
        .value_kind:     hidden_block_count_x
      - .offset:         100
        .size:           4
        .value_kind:     hidden_block_count_y
      - .offset:         104
        .size:           4
        .value_kind:     hidden_block_count_z
      - .offset:         108
        .size:           2
        .value_kind:     hidden_group_size_x
      - .offset:         110
        .size:           2
        .value_kind:     hidden_group_size_y
      - .offset:         112
        .size:           2
        .value_kind:     hidden_group_size_z
      - .offset:         114
        .size:           2
        .value_kind:     hidden_remainder_x
      - .offset:         116
        .size:           2
        .value_kind:     hidden_remainder_y
      - .offset:         118
        .size:           2
        .value_kind:     hidden_remainder_z
      - .offset:         136
        .size:           8
        .value_kind:     hidden_global_offset_x
      - .offset:         144
        .size:           8
        .value_kind:     hidden_global_offset_y
      - .offset:         152
        .size:           8
        .value_kind:     hidden_global_offset_z
      - .offset:         160
        .size:           2
        .value_kind:     hidden_grid_dims
    .group_segment_fixed_size: 16384
    .kernarg_segment_align: 8
    .kernarg_segment_size: 352
    .language:       OpenCL C
    .language_version:
      - 2
      - 0
    .max_flat_workgroup_size: 1024
    .name:           _ZL18solve_tri_f32_fastILi64ELi2EEvPKfS1_Pf15HIP_vector_typeIjLj3EEmmmmmmii
    .private_segment_fixed_size: 0
    .sgpr_count:     100
    .sgpr_spill_count: 44
    .symbol:         _ZL18solve_tri_f32_fastILi64ELi2EEvPKfS1_Pf15HIP_vector_typeIjLj3EEmmmmmmii.kd
    .uniform_work_group_size: 1
    .uses_dynamic_stack: false
    .vgpr_count:     18
    .vgpr_spill_count: 0
    .wavefront_size: 64
  - .agpr_count:     0
    .args:
      - .actual_access:  read_only
        .address_space:  global
        .offset:         0
        .size:           8
        .value_kind:     global_buffer
      - .actual_access:  read_only
        .address_space:  global
        .offset:         8
        .size:           8
        .value_kind:     global_buffer
      - .actual_access:  write_only
        .address_space:  global
        .offset:         16
        .size:           8
        .value_kind:     global_buffer
      - .offset:         24
        .size:           12
        .value_kind:     by_value
      - .offset:         40
        .size:           8
        .value_kind:     by_value
      - .offset:         48
        .size:           8
        .value_kind:     by_value
      - .offset:         56
        .size:           8
        .value_kind:     by_value
      - .offset:         64
        .size:           8
        .value_kind:     by_value
      - .offset:         72
        .size:           8
        .value_kind:     by_value
      - .offset:         80
        .size:           8
        .value_kind:     by_value
      - .offset:         88
        .size:           4
        .value_kind:     by_value
      - .offset:         92
        .size:           4
        .value_kind:     by_value
    .group_segment_fixed_size: 16384
    .kernarg_segment_align: 8
    .kernarg_segment_size: 96
    .language:       OpenCL C
    .language_version:
      - 2
      - 0
    .max_flat_workgroup_size: 1024
    .name:           _ZL18solve_tri_f32_fastILi64ELi1EEvPKfS1_Pf15HIP_vector_typeIjLj3EEmmmmmmii
    .private_segment_fixed_size: 0
    .sgpr_count:     100
    .sgpr_spill_count: 44
    .symbol:         _ZL18solve_tri_f32_fastILi64ELi1EEvPKfS1_Pf15HIP_vector_typeIjLj3EEmmmmmmii.kd
    .uniform_work_group_size: 1
    .uses_dynamic_stack: false
    .vgpr_count:     69
    .vgpr_spill_count: 0
    .wavefront_size: 64
  - .agpr_count:     0
    .args:
      - .actual_access:  read_only
        .address_space:  global
        .offset:         0
        .size:           8
        .value_kind:     global_buffer
      - .actual_access:  read_only
        .address_space:  global
        .offset:         8
        .size:           8
        .value_kind:     global_buffer
      - .actual_access:  write_only
        .address_space:  global
        .offset:         16
        .size:           8
        .value_kind:     global_buffer
      - .offset:         24
        .size:           12
        .value_kind:     by_value
      - .offset:         40
        .size:           8
        .value_kind:     by_value
      - .offset:         48
        .size:           8
        .value_kind:     by_value
      - .offset:         56
        .size:           8
        .value_kind:     by_value
      - .offset:         64
        .size:           8
        .value_kind:     by_value
      - .offset:         72
        .size:           8
        .value_kind:     by_value
      - .offset:         80
        .size:           8
        .value_kind:     by_value
      - .offset:         88
        .size:           4
        .value_kind:     by_value
      - .offset:         92
        .size:           4
        .value_kind:     by_value
      - .offset:         96
        .size:           4
        .value_kind:     hidden_block_count_x
      - .offset:         100
        .size:           4
        .value_kind:     hidden_block_count_y
      - .offset:         104
        .size:           4
        .value_kind:     hidden_block_count_z
      - .offset:         108
        .size:           2
        .value_kind:     hidden_group_size_x
      - .offset:         110
        .size:           2
        .value_kind:     hidden_group_size_y
      - .offset:         112
        .size:           2
        .value_kind:     hidden_group_size_z
      - .offset:         114
        .size:           2
        .value_kind:     hidden_remainder_x
      - .offset:         116
        .size:           2
        .value_kind:     hidden_remainder_y
      - .offset:         118
        .size:           2
        .value_kind:     hidden_remainder_z
      - .offset:         136
        .size:           8
        .value_kind:     hidden_global_offset_x
      - .offset:         144
        .size:           8
        .value_kind:     hidden_global_offset_y
      - .offset:         152
        .size:           8
        .value_kind:     hidden_global_offset_z
      - .offset:         160
        .size:           2
        .value_kind:     hidden_grid_dims
    .group_segment_fixed_size: 16384
    .kernarg_segment_align: 8
    .kernarg_segment_size: 352
    .language:       OpenCL C
    .language_version:
      - 2
      - 0
    .max_flat_workgroup_size: 1024
    .name:           _ZL18solve_tri_f32_fastILi0ELi0EEvPKfS1_Pf15HIP_vector_typeIjLj3EEmmmmmmii
    .private_segment_fixed_size: 0
    .sgpr_count:     32
    .sgpr_spill_count: 0
    .symbol:         _ZL18solve_tri_f32_fastILi0ELi0EEvPKfS1_Pf15HIP_vector_typeIjLj3EEmmmmmmii.kd
    .uniform_work_group_size: 1
    .uses_dynamic_stack: false
    .vgpr_count:     19
    .vgpr_spill_count: 0
    .wavefront_size: 64
amdhsa.target:   amdgcn-amd-amdhsa--gfx90a
amdhsa.version:
  - 1
  - 2
...

	.end_amdgpu_metadata
